;; amdgpu-corpus repo=ROCm/rocFFT kind=compiled arch=gfx1030 opt=O3
	.text
	.amdgcn_target "amdgcn-amd-amdhsa--gfx1030"
	.amdhsa_code_object_version 6
	.protected	fft_rtc_fwd_len1445_factors_17_5_17_wgs_85_tpt_85_halfLds_dp_op_CI_CI_sbrr_dirReg ; -- Begin function fft_rtc_fwd_len1445_factors_17_5_17_wgs_85_tpt_85_halfLds_dp_op_CI_CI_sbrr_dirReg
	.globl	fft_rtc_fwd_len1445_factors_17_5_17_wgs_85_tpt_85_halfLds_dp_op_CI_CI_sbrr_dirReg
	.p2align	8
	.type	fft_rtc_fwd_len1445_factors_17_5_17_wgs_85_tpt_85_halfLds_dp_op_CI_CI_sbrr_dirReg,@function
fft_rtc_fwd_len1445_factors_17_5_17_wgs_85_tpt_85_halfLds_dp_op_CI_CI_sbrr_dirReg: ; @fft_rtc_fwd_len1445_factors_17_5_17_wgs_85_tpt_85_halfLds_dp_op_CI_CI_sbrr_dirReg
; %bb.0:
	s_clause 0x2
	s_load_dwordx4 s[16:19], s[4:5], 0x18
	s_load_dwordx4 s[12:15], s[4:5], 0x0
	;; [unrolled: 1-line block ×3, first 2 shown]
	v_mul_u32_u24_e32 v2, 0x304, v0
	v_mov_b32_e32 v1, 0
	v_mov_b32_e32 v4, 0
	;; [unrolled: 1-line block ×3, first 2 shown]
	s_waitcnt lgkmcnt(0)
	s_load_dwordx2 s[20:21], s[16:17], 0x0
	s_load_dwordx2 s[2:3], s[18:19], 0x0
	v_cmp_lt_u64_e64 s0, s[14:15], 2
	v_add_nc_u32_sdwa v6, s6, v2 dst_sel:DWORD dst_unused:UNUSED_PAD src0_sel:DWORD src1_sel:WORD_1
	v_mov_b32_e32 v7, v1
	s_and_b32 vcc_lo, exec_lo, s0
	s_cbranch_vccnz .LBB0_8
; %bb.1:
	s_load_dwordx2 s[0:1], s[4:5], 0x10
	v_mov_b32_e32 v4, 0
	v_mov_b32_e32 v5, 0
	s_add_u32 s6, s18, 8
	s_addc_u32 s7, s19, 0
	s_add_u32 s22, s16, 8
	s_addc_u32 s23, s17, 0
	v_mov_b32_e32 v93, v5
	v_mov_b32_e32 v92, v4
	s_mov_b64 s[26:27], 1
	s_waitcnt lgkmcnt(0)
	s_add_u32 s24, s0, 8
	s_addc_u32 s25, s1, 0
.LBB0_2:                                ; =>This Inner Loop Header: Depth=1
	s_load_dwordx2 s[28:29], s[24:25], 0x0
                                        ; implicit-def: $vgpr94_vgpr95
	s_mov_b32 s0, exec_lo
	s_waitcnt lgkmcnt(0)
	v_or_b32_e32 v2, s29, v7
	v_cmpx_ne_u64_e32 0, v[1:2]
	s_xor_b32 s1, exec_lo, s0
	s_cbranch_execz .LBB0_4
; %bb.3:                                ;   in Loop: Header=BB0_2 Depth=1
	v_cvt_f32_u32_e32 v2, s28
	v_cvt_f32_u32_e32 v3, s29
	s_sub_u32 s0, 0, s28
	s_subb_u32 s30, 0, s29
	v_fmac_f32_e32 v2, 0x4f800000, v3
	v_rcp_f32_e32 v2, v2
	v_mul_f32_e32 v2, 0x5f7ffffc, v2
	v_mul_f32_e32 v3, 0x2f800000, v2
	v_trunc_f32_e32 v3, v3
	v_fmac_f32_e32 v2, 0xcf800000, v3
	v_cvt_u32_f32_e32 v3, v3
	v_cvt_u32_f32_e32 v2, v2
	v_mul_lo_u32 v8, s0, v3
	v_mul_hi_u32 v9, s0, v2
	v_mul_lo_u32 v10, s30, v2
	v_add_nc_u32_e32 v8, v9, v8
	v_mul_lo_u32 v9, s0, v2
	v_add_nc_u32_e32 v8, v8, v10
	v_mul_hi_u32 v10, v2, v9
	v_mul_lo_u32 v11, v2, v8
	v_mul_hi_u32 v12, v2, v8
	v_mul_hi_u32 v13, v3, v9
	v_mul_lo_u32 v9, v3, v9
	v_mul_hi_u32 v14, v3, v8
	v_mul_lo_u32 v8, v3, v8
	v_add_co_u32 v10, vcc_lo, v10, v11
	v_add_co_ci_u32_e32 v11, vcc_lo, 0, v12, vcc_lo
	v_add_co_u32 v9, vcc_lo, v10, v9
	v_add_co_ci_u32_e32 v9, vcc_lo, v11, v13, vcc_lo
	v_add_co_ci_u32_e32 v10, vcc_lo, 0, v14, vcc_lo
	v_add_co_u32 v8, vcc_lo, v9, v8
	v_add_co_ci_u32_e32 v9, vcc_lo, 0, v10, vcc_lo
	v_add_co_u32 v2, vcc_lo, v2, v8
	v_add_co_ci_u32_e32 v3, vcc_lo, v3, v9, vcc_lo
	v_mul_hi_u32 v8, s0, v2
	v_mul_lo_u32 v10, s30, v2
	v_mul_lo_u32 v9, s0, v3
	v_add_nc_u32_e32 v8, v8, v9
	v_mul_lo_u32 v9, s0, v2
	v_add_nc_u32_e32 v8, v8, v10
	v_mul_hi_u32 v10, v2, v9
	v_mul_lo_u32 v11, v2, v8
	v_mul_hi_u32 v12, v2, v8
	v_mul_hi_u32 v13, v3, v9
	v_mul_lo_u32 v9, v3, v9
	v_mul_hi_u32 v14, v3, v8
	v_mul_lo_u32 v8, v3, v8
	v_add_co_u32 v10, vcc_lo, v10, v11
	v_add_co_ci_u32_e32 v11, vcc_lo, 0, v12, vcc_lo
	v_add_co_u32 v9, vcc_lo, v10, v9
	v_add_co_ci_u32_e32 v9, vcc_lo, v11, v13, vcc_lo
	v_add_co_ci_u32_e32 v10, vcc_lo, 0, v14, vcc_lo
	v_add_co_u32 v8, vcc_lo, v9, v8
	v_add_co_ci_u32_e32 v9, vcc_lo, 0, v10, vcc_lo
	v_add_co_u32 v8, vcc_lo, v2, v8
	v_add_co_ci_u32_e32 v10, vcc_lo, v3, v9, vcc_lo
	v_mul_hi_u32 v12, v6, v8
	v_mad_u64_u32 v[8:9], null, v7, v8, 0
	v_mad_u64_u32 v[2:3], null, v6, v10, 0
	v_mad_u64_u32 v[10:11], null, v7, v10, 0
	v_add_co_u32 v2, vcc_lo, v12, v2
	v_add_co_ci_u32_e32 v3, vcc_lo, 0, v3, vcc_lo
	v_add_co_u32 v2, vcc_lo, v2, v8
	v_add_co_ci_u32_e32 v2, vcc_lo, v3, v9, vcc_lo
	v_add_co_ci_u32_e32 v3, vcc_lo, 0, v11, vcc_lo
	v_add_co_u32 v8, vcc_lo, v2, v10
	v_add_co_ci_u32_e32 v9, vcc_lo, 0, v3, vcc_lo
	v_mul_lo_u32 v10, s29, v8
	v_mad_u64_u32 v[2:3], null, s28, v8, 0
	v_mul_lo_u32 v11, s28, v9
	v_sub_co_u32 v2, vcc_lo, v6, v2
	v_add3_u32 v3, v3, v11, v10
	v_sub_nc_u32_e32 v10, v7, v3
	v_subrev_co_ci_u32_e64 v10, s0, s29, v10, vcc_lo
	v_add_co_u32 v11, s0, v8, 2
	v_add_co_ci_u32_e64 v12, s0, 0, v9, s0
	v_sub_co_u32 v13, s0, v2, s28
	v_sub_co_ci_u32_e32 v3, vcc_lo, v7, v3, vcc_lo
	v_subrev_co_ci_u32_e64 v10, s0, 0, v10, s0
	v_cmp_le_u32_e32 vcc_lo, s28, v13
	v_cmp_eq_u32_e64 s0, s29, v3
	v_cndmask_b32_e64 v13, 0, -1, vcc_lo
	v_cmp_le_u32_e32 vcc_lo, s29, v10
	v_cndmask_b32_e64 v14, 0, -1, vcc_lo
	v_cmp_le_u32_e32 vcc_lo, s28, v2
	;; [unrolled: 2-line block ×3, first 2 shown]
	v_cndmask_b32_e64 v15, 0, -1, vcc_lo
	v_cmp_eq_u32_e32 vcc_lo, s29, v10
	v_cndmask_b32_e64 v2, v15, v2, s0
	v_cndmask_b32_e32 v10, v14, v13, vcc_lo
	v_add_co_u32 v13, vcc_lo, v8, 1
	v_add_co_ci_u32_e32 v14, vcc_lo, 0, v9, vcc_lo
	v_cmp_ne_u32_e32 vcc_lo, 0, v10
	v_cndmask_b32_e32 v3, v14, v12, vcc_lo
	v_cndmask_b32_e32 v10, v13, v11, vcc_lo
	v_cmp_ne_u32_e32 vcc_lo, 0, v2
	v_cndmask_b32_e32 v95, v9, v3, vcc_lo
	v_cndmask_b32_e32 v94, v8, v10, vcc_lo
.LBB0_4:                                ;   in Loop: Header=BB0_2 Depth=1
	s_andn2_saveexec_b32 s0, s1
	s_cbranch_execz .LBB0_6
; %bb.5:                                ;   in Loop: Header=BB0_2 Depth=1
	v_cvt_f32_u32_e32 v2, s28
	s_sub_i32 s1, 0, s28
	v_mov_b32_e32 v95, v1
	v_rcp_iflag_f32_e32 v2, v2
	v_mul_f32_e32 v2, 0x4f7ffffe, v2
	v_cvt_u32_f32_e32 v2, v2
	v_mul_lo_u32 v3, s1, v2
	v_mul_hi_u32 v3, v2, v3
	v_add_nc_u32_e32 v2, v2, v3
	v_mul_hi_u32 v2, v6, v2
	v_mul_lo_u32 v3, v2, s28
	v_add_nc_u32_e32 v8, 1, v2
	v_sub_nc_u32_e32 v3, v6, v3
	v_subrev_nc_u32_e32 v9, s28, v3
	v_cmp_le_u32_e32 vcc_lo, s28, v3
	v_cndmask_b32_e32 v3, v3, v9, vcc_lo
	v_cndmask_b32_e32 v2, v2, v8, vcc_lo
	v_cmp_le_u32_e32 vcc_lo, s28, v3
	v_add_nc_u32_e32 v8, 1, v2
	v_cndmask_b32_e32 v94, v2, v8, vcc_lo
.LBB0_6:                                ;   in Loop: Header=BB0_2 Depth=1
	s_or_b32 exec_lo, exec_lo, s0
	v_mul_lo_u32 v8, v95, s28
	v_mul_lo_u32 v9, v94, s29
	s_load_dwordx2 s[0:1], s[22:23], 0x0
	v_mad_u64_u32 v[2:3], null, v94, s28, 0
	s_load_dwordx2 s[28:29], s[6:7], 0x0
	s_add_u32 s26, s26, 1
	s_addc_u32 s27, s27, 0
	s_add_u32 s6, s6, 8
	s_addc_u32 s7, s7, 0
	s_add_u32 s22, s22, 8
	v_add3_u32 v3, v3, v9, v8
	v_sub_co_u32 v2, vcc_lo, v6, v2
	s_addc_u32 s23, s23, 0
	s_add_u32 s24, s24, 8
	v_sub_co_ci_u32_e32 v3, vcc_lo, v7, v3, vcc_lo
	s_addc_u32 s25, s25, 0
	s_waitcnt lgkmcnt(0)
	v_mul_lo_u32 v6, s0, v3
	v_mul_lo_u32 v7, s1, v2
	v_mad_u64_u32 v[4:5], null, s0, v2, v[4:5]
	v_mul_lo_u32 v3, s28, v3
	v_mul_lo_u32 v8, s29, v2
	v_mad_u64_u32 v[92:93], null, s28, v2, v[92:93]
	v_cmp_ge_u64_e64 s0, s[26:27], s[14:15]
	v_add3_u32 v5, v7, v5, v6
	v_add3_u32 v93, v8, v93, v3
	s_and_b32 vcc_lo, exec_lo, s0
	s_cbranch_vccnz .LBB0_9
; %bb.7:                                ;   in Loop: Header=BB0_2 Depth=1
	v_mov_b32_e32 v6, v94
	v_mov_b32_e32 v7, v95
	s_branch .LBB0_2
.LBB0_8:
	v_mov_b32_e32 v93, v5
	v_mov_b32_e32 v95, v7
	;; [unrolled: 1-line block ×4, first 2 shown]
.LBB0_9:
	s_load_dwordx2 s[0:1], s[4:5], 0x28
	v_mul_hi_u32 v1, 0x3030304, v0
	s_lshl_b64 s[6:7], s[14:15], 3
                                        ; implicit-def: $vgpr114
                                        ; implicit-def: $vgpr116
                                        ; implicit-def: $vgpr117
                                        ; implicit-def: $vgpr115
	s_add_u32 s4, s18, s6
	s_addc_u32 s5, s19, s7
	s_waitcnt lgkmcnt(0)
	v_cmp_gt_u64_e32 vcc_lo, s[0:1], v[94:95]
	v_cmp_le_u64_e64 s0, s[0:1], v[94:95]
                                        ; implicit-def: $sgpr1
	s_and_saveexec_b32 s14, s0
	s_xor_b32 s0, exec_lo, s14
; %bb.10:
	v_mul_u32_u24_e32 v1, 0x55, v1
	s_mov_b32 s1, 0
                                        ; implicit-def: $vgpr4_vgpr5
	v_sub_nc_u32_e32 v114, v0, v1
                                        ; implicit-def: $vgpr1
                                        ; implicit-def: $vgpr0
	v_add_nc_u32_e32 v116, 0x55, v114
	v_add_nc_u32_e32 v117, 0xaa, v114
	;; [unrolled: 1-line block ×3, first 2 shown]
; %bb.11:
	s_or_saveexec_b32 s14, s0
	v_mov_b32_e32 v144, s1
                                        ; implicit-def: $vgpr26_vgpr27
                                        ; implicit-def: $vgpr46_vgpr47
                                        ; implicit-def: $vgpr50_vgpr51
                                        ; implicit-def: $vgpr54_vgpr55
                                        ; implicit-def: $vgpr58_vgpr59
                                        ; implicit-def: $vgpr62_vgpr63
                                        ; implicit-def: $vgpr66_vgpr67
                                        ; implicit-def: $vgpr38_vgpr39
                                        ; implicit-def: $vgpr42_vgpr43
                                        ; implicit-def: $vgpr34_vgpr35
                                        ; implicit-def: $vgpr30_vgpr31
                                        ; implicit-def: $vgpr22_vgpr23
                                        ; implicit-def: $vgpr18_vgpr19
                                        ; implicit-def: $vgpr10_vgpr11
                                        ; implicit-def: $vgpr6_vgpr7
                                        ; implicit-def: $vgpr14_vgpr15
                                        ; implicit-def: $vgpr2_vgpr3
	s_xor_b32 exec_lo, exec_lo, s14
	s_cbranch_execz .LBB0_13
; %bb.12:
	s_add_u32 s0, s16, s6
	s_addc_u32 s1, s17, s7
	v_mul_u32_u24_e32 v1, 0x55, v1
	s_load_dwordx2 s[0:1], s[0:1], 0x0
	v_sub_nc_u32_e32 v114, v0, v1
	v_lshlrev_b64 v[0:1], 4, v[4:5]
	v_add_nc_u32_e32 v116, 0x55, v114
	v_mad_u64_u32 v[2:3], null, s20, v114, 0
	v_add_nc_u32_e32 v117, 0xaa, v114
	v_add_nc_u32_e32 v115, 0xff, v114
	v_mad_u64_u32 v[4:5], null, s20, v116, 0
	v_add_nc_u32_e32 v18, 0x154, v114
	v_mad_u64_u32 v[6:7], null, s20, v117, 0
	v_mad_u64_u32 v[10:11], null, s20, v115, 0
	s_waitcnt lgkmcnt(0)
	v_mul_lo_u32 v14, s1, v94
	v_mul_lo_u32 v15, s0, v95
	v_mad_u64_u32 v[8:9], null, s0, v94, 0
	v_mad_u64_u32 v[12:13], null, s21, v114, v[3:4]
	v_mov_b32_e32 v3, v5
	v_mov_b32_e32 v5, v7
	;; [unrolled: 1-line block ×3, first 2 shown]
	v_mad_u64_u32 v[16:17], null, s20, v18, 0
	v_add3_u32 v9, v9, v15, v14
	v_mad_u64_u32 v[13:14], null, s21, v116, v[3:4]
	v_mov_b32_e32 v3, v12
	v_mad_u64_u32 v[11:12], null, s21, v117, v[5:6]
	v_lshlrev_b64 v[8:9], 4, v[8:9]
	v_add_nc_u32_e32 v12, 0x1a9, v114
	v_lshlrev_b64 v[2:3], 4, v[2:3]
	v_mov_b32_e32 v5, v13
	v_add_nc_u32_e32 v24, 0x1fe, v114
	v_add_nc_u32_e32 v26, 0x253, v114
	v_mad_u64_u32 v[14:15], null, s21, v115, v[7:8]
	v_add_co_u32 v7, s0, s8, v8
	v_add_co_ci_u32_e64 v8, s0, s9, v9, s0
	v_mad_u64_u32 v[20:21], null, s20, v24, 0
	v_add_co_u32 v54, s0, v7, v0
	v_add_co_ci_u32_e64 v55, s0, v8, v1, s0
	v_lshlrev_b64 v[0:1], 4, v[4:5]
	v_add_co_u32 v2, s0, v54, v2
	v_add_co_ci_u32_e64 v3, s0, v55, v3, s0
	v_mov_b32_e32 v7, v11
	v_add_co_u32 v4, s0, v54, v0
	v_mov_b32_e32 v0, v17
	v_add_co_ci_u32_e64 v5, s0, v55, v1, s0
	v_mov_b32_e32 v11, v14
	v_add_nc_u32_e32 v31, 0x2a8, v114
	v_mad_u64_u32 v[0:1], null, s21, v18, v[0:1]
	v_mad_u64_u32 v[18:19], null, s20, v12, 0
	v_lshlrev_b64 v[6:7], 4, v[6:7]
	v_lshlrev_b64 v[8:9], 4, v[10:11]
	v_add_nc_u32_e32 v33, 0x2fd, v114
	v_add_nc_u32_e32 v35, 0x3a7, v114
	v_mov_b32_e32 v17, v0
	v_mov_b32_e32 v144, v114
	;; [unrolled: 1-line block ×3, first 2 shown]
	v_add_co_u32 v6, s0, v54, v6
	v_lshlrev_b64 v[16:17], 4, v[16:17]
	v_add_co_ci_u32_e64 v7, s0, v55, v7, s0
	v_mad_u64_u32 v[22:23], null, s21, v12, v[1:2]
	v_add_co_u32 v8, s0, v54, v8
	v_add_co_ci_u32_e64 v9, s0, v55, v9, s0
	v_add_co_u32 v16, s0, v54, v16
	v_mov_b32_e32 v19, v22
	v_mad_u64_u32 v[22:23], null, s20, v26, 0
	v_add_co_ci_u32_e64 v17, s0, v55, v17, s0
	v_lshlrev_b64 v[18:19], 4, v[18:19]
	v_mad_u64_u32 v[29:30], null, s20, v33, 0
	s_clause 0x3
	global_load_dwordx4 v[0:3], v[2:3], off
	global_load_dwordx4 v[12:15], v[4:5], off
	;; [unrolled: 1-line block ×4, first 2 shown]
	v_mad_u64_u32 v[24:25], null, s21, v24, v[21:22]
	v_mov_b32_e32 v21, v24
	v_mad_u64_u32 v[24:25], null, s20, v31, 0
	v_mad_u64_u32 v[26:27], null, s21, v26, v[23:24]
	v_add_co_u32 v27, s0, v54, v18
	v_add_co_ci_u32_e64 v28, s0, v55, v19, s0
	v_lshlrev_b64 v[18:19], 4, v[20:21]
	v_mov_b32_e32 v20, v25
	v_mov_b32_e32 v23, v26
	v_add_nc_u32_e32 v26, 0x352, v114
	v_mad_u64_u32 v[20:21], null, s21, v31, v[20:21]
	v_add_co_u32 v31, s0, v54, v18
	v_add_co_ci_u32_e64 v32, s0, v55, v19, s0
	v_lshlrev_b64 v[18:19], 4, v[22:23]
	v_mad_u64_u32 v[22:23], null, s20, v26, 0
	v_mov_b32_e32 v21, v30
	v_mov_b32_e32 v25, v20
	v_mad_u64_u32 v[20:21], null, s21, v33, v[21:22]
	v_add_co_u32 v33, s0, v54, v18
	v_add_co_ci_u32_e64 v34, s0, v55, v19, s0
	v_lshlrev_b64 v[18:19], 4, v[24:25]
	v_mov_b32_e32 v21, v23
	v_mad_u64_u32 v[24:25], null, s20, v35, 0
	v_mov_b32_e32 v30, v20
	v_mad_u64_u32 v[20:21], null, s21, v26, v[21:22]
	v_add_nc_u32_e32 v26, 0x3fc, v114
	v_add_co_u32 v36, s0, v54, v18
	v_mov_b32_e32 v21, v25
	v_add_co_ci_u32_e64 v37, s0, v55, v19, s0
	v_lshlrev_b64 v[18:19], 4, v[29:30]
	v_mov_b32_e32 v23, v20
	v_mad_u64_u32 v[29:30], null, s20, v26, 0
	v_mad_u64_u32 v[20:21], null, s21, v35, v[21:22]
	v_add_nc_u32_e32 v35, 0x451, v114
	v_lshlrev_b64 v[21:22], 4, v[22:23]
	v_add_co_u32 v38, s0, v54, v18
	v_mov_b32_e32 v18, v30
	v_mad_u64_u32 v[40:41], null, s20, v35, 0
	v_add_co_ci_u32_e64 v39, s0, v55, v19, s0
	v_mad_u64_u32 v[18:19], null, s21, v26, v[18:19]
	v_mov_b32_e32 v25, v20
	v_add_co_u32 v44, s0, v54, v21
	v_mov_b32_e32 v21, v41
	v_add_nc_u32_e32 v23, 0x4a6, v114
	v_add_nc_u32_e32 v26, 0x4fb, v114
	v_add_co_ci_u32_e64 v45, s0, v55, v22, s0
	v_lshlrev_b64 v[19:20], 4, v[24:25]
	v_mad_u64_u32 v[21:22], null, s21, v35, v[21:22]
	v_mad_u64_u32 v[24:25], null, s20, v23, 0
	;; [unrolled: 1-line block ×3, first 2 shown]
	v_add_co_u32 v46, s0, v54, v19
	v_add_co_ci_u32_e64 v47, s0, v55, v20, s0
	v_mov_b32_e32 v20, v25
	v_mov_b32_e32 v41, v21
	v_add_nc_u32_e32 v35, 0x550, v114
	v_mov_b32_e32 v21, v43
	v_mov_b32_e32 v30, v18
	v_lshlrev_b64 v[40:41], 4, v[40:41]
	v_mad_u64_u32 v[48:49], null, s20, v35, 0
	v_mad_u64_u32 v[22:23], null, s21, v23, v[20:21]
	v_lshlrev_b64 v[18:19], 4, v[29:30]
	v_mad_u64_u32 v[29:30], null, s21, v26, v[21:22]
	v_mov_b32_e32 v26, v49
	v_add_co_u32 v50, s0, v54, v18
	v_add_co_ci_u32_e64 v51, s0, v55, v19, s0
	v_mov_b32_e32 v25, v22
	s_clause 0x1
	global_load_dwordx4 v[16:19], v[16:17], off
	global_load_dwordx4 v[20:23], v[27:28], off
	v_mad_u64_u32 v[26:27], null, s21, v35, v[26:27]
	v_mov_b32_e32 v43, v29
	v_lshlrev_b64 v[24:25], 4, v[24:25]
	v_add_co_u32 v52, s0, v54, v40
	v_add_co_ci_u32_e64 v53, s0, v55, v41, s0
	v_mov_b32_e32 v49, v26
	v_lshlrev_b64 v[40:41], 4, v[42:43]
	v_add_co_u32 v24, s0, v54, v24
	v_add_co_ci_u32_e64 v25, s0, v55, v25, s0
	v_lshlrev_b64 v[26:27], 4, v[48:49]
	v_add_co_u32 v68, s0, v54, v40
	v_add_co_ci_u32_e64 v69, s0, v55, v41, s0
	s_clause 0x1
	global_load_dwordx4 v[28:31], v[31:32], off
	global_load_dwordx4 v[32:35], v[33:34], off
	v_add_co_u32 v26, s0, v54, v26
	v_add_co_ci_u32_e64 v27, s0, v55, v27, s0
	s_clause 0x8
	global_load_dwordx4 v[40:43], v[36:37], off
	global_load_dwordx4 v[36:39], v[38:39], off
	;; [unrolled: 1-line block ×9, first 2 shown]
.LBB0_13:
	s_or_b32 exec_lo, exec_lo, s14
	s_waitcnt vmcnt(0)
	v_add_f64 v[70:71], v[24:25], v[12:13]
	s_mov_b32 s8, 0x75d4884
	s_mov_b32 s9, 0x3fe7a5f6
	v_add_f64 v[68:69], v[14:15], -v[26:27]
	v_add_f64 v[78:79], v[44:45], v[4:5]
	s_mov_b32 s16, 0x2a9d6da3
	s_mov_b32 s6, 0x3259b75e
	;; [unrolled: 1-line block ×4, first 2 shown]
	v_add_f64 v[72:73], v[6:7], -v[46:47]
	s_mov_b32 s14, 0xeb564b22
	s_mov_b32 s18, 0x2b2883cd
	;; [unrolled: 1-line block ×6, first 2 shown]
	v_add_f64 v[136:137], v[12:13], v[0:1]
	s_mov_b32 s24, 0x7c9e640b
	s_mov_b32 s20, 0x6ed5f1bb
	;; [unrolled: 1-line block ×5, first 2 shown]
	v_mul_f64 v[82:83], v[70:71], s[8:9]
	v_mul_f64 v[86:87], v[70:71], s[18:19]
	;; [unrolled: 1-line block ×5, first 2 shown]
	s_mov_b32 s25, 0x3feca52d
	s_mov_b32 s21, 0xbfe348c8
	;; [unrolled: 1-line block ×5, first 2 shown]
	v_add_f64 v[80:81], v[48:49], v[8:9]
	v_mul_f64 v[104:105], v[70:71], s[20:21]
	v_mul_f64 v[106:107], v[70:71], s[30:31]
	;; [unrolled: 1-line block ×5, first 2 shown]
	s_mov_b32 s34, 0x6c9a05f6
	s_mov_b32 s40, 0xacd6c6b4
	;; [unrolled: 1-line block ×6, first 2 shown]
	v_fma_f64 v[108:109], v[68:69], s[16:17], v[82:83]
	v_fma_f64 v[112:113], v[68:69], s[24:25], v[86:87]
	;; [unrolled: 1-line block ×5, first 2 shown]
	s_mov_b32 s43, 0xbfe0d888
	s_mov_b32 s42, s50
	v_add_f64 v[74:75], v[10:11], -v[50:51]
	v_add_f64 v[84:85], v[52:53], v[16:17]
	v_mul_f64 v[126:127], v[78:79], s[28:29]
	v_mul_f64 v[100:101], v[80:81], s[20:21]
	v_fma_f64 v[128:129], v[68:69], s[34:35], v[104:105]
	v_mul_f64 v[130:131], v[78:79], s[18:19]
	v_fma_f64 v[132:133], v[68:69], s[50:51], v[106:107]
	v_mul_f64 v[138:139], v[80:81], s[22:23]
	v_mul_f64 v[142:143], v[80:81], s[28:29]
	;; [unrolled: 1-line block ×3, first 2 shown]
	v_fma_f64 v[149:150], v[72:73], s[34:35], v[110:111]
	v_fma_f64 v[151:152], v[72:73], s[40:41], v[118:119]
	;; [unrolled: 1-line block ×3, first 2 shown]
	s_mov_b32 s36, 0x370991
	s_mov_b32 s27, 0xbfc7851a
	v_add_f64 v[108:109], v[0:1], v[108:109]
	v_add_f64 v[112:113], v[0:1], v[112:113]
	;; [unrolled: 1-line block ×4, first 2 shown]
	s_mov_b32 s39, 0xbfeec746
	s_mov_b32 s49, 0xbfe58eea
	;; [unrolled: 1-line block ×8, first 2 shown]
	v_add_f64 v[76:77], v[18:19], -v[54:55]
	v_add_f64 v[90:91], v[56:57], v[20:21]
	v_mul_f64 v[140:141], v[84:85], s[22:23]
	v_mul_f64 v[147:148], v[80:81], s[36:37]
	;; [unrolled: 1-line block ×3, first 2 shown]
	v_fma_f64 v[157:158], v[72:73], s[38:39], v[126:127]
	v_add_f64 v[128:129], v[0:1], v[128:129]
	v_fma_f64 v[159:160], v[72:73], s[52:53], v[130:131]
	v_fma_f64 v[161:162], v[74:75], s[34:35], v[100:101]
	v_add_f64 v[132:133], v[0:1], v[132:133]
	v_add_f64 v[108:109], v[134:135], v[108:109]
	;; [unrolled: 1-line block ×3, first 2 shown]
	v_mul_f64 v[165:166], v[84:85], s[36:37]
	v_mul_f64 v[167:168], v[84:85], s[18:19]
	v_fma_f64 v[169:170], v[74:75], s[26:27], v[138:139]
	v_add_f64 v[112:113], v[149:150], v[112:113]
	v_fma_f64 v[149:150], v[74:75], s[38:39], v[142:143]
	v_add_f64 v[120:121], v[151:152], v[120:121]
	;; [unrolled: 2-line block ×3, first 2 shown]
	s_mov_b32 s54, 0x5d8e7cdc
	s_mov_b32 s55, 0x3fd71e95
	;; [unrolled: 1-line block ×4, first 2 shown]
	v_add_f64 v[88:89], v[22:23], -v[58:59]
	v_mul_f64 v[151:152], v[84:85], s[30:31]
	v_fma_f64 v[155:156], v[74:75], s[54:55], v[147:148]
	v_fma_f64 v[173:174], v[74:75], s[14:15], v[153:154]
	v_add_f64 v[128:129], v[157:158], v[128:129]
	v_mul_f64 v[157:158], v[84:85], s[20:21]
	v_add_f64 v[179:180], v[60:61], v[28:29]
	v_add_f64 v[132:133], v[159:160], v[132:133]
	v_fma_f64 v[159:160], v[76:77], s[40:41], v[140:141]
	v_add_f64 v[134:135], v[8:9], v[134:135]
	v_add_f64 v[108:109], v[161:162], v[108:109]
	v_fma_f64 v[181:182], v[76:77], s[24:25], v[167:168]
	v_mul_f64 v[136:137], v[84:85], s[28:29]
	v_add_f64 v[112:113], v[169:170], v[112:113]
	v_fma_f64 v[169:170], v[76:77], s[56:57], v[165:166]
	v_add_f64 v[120:121], v[149:150], v[120:121]
	v_mul_f64 v[149:150], v[90:91], s[18:19]
	v_add_f64 v[124:125], v[171:172], v[124:125]
	s_mov_b32 s47, 0xbfe9895b
	s_mov_b32 s46, s34
	v_mul_f64 v[161:162], v[70:71], s[22:23]
	v_mul_f64 v[163:164], v[90:91], s[30:31]
	;; [unrolled: 1-line block ×3, first 2 shown]
	v_fma_f64 v[171:172], v[76:77], s[50:51], v[151:152]
	s_mov_b32 s59, 0xbfefdd0d
	s_mov_b32 s58, s14
	v_add_f64 v[128:129], v[155:156], v[128:129]
	v_mul_f64 v[155:156], v[90:91], s[22:23]
	v_fma_f64 v[183:184], v[76:77], s[46:47], v[157:158]
	v_add_f64 v[132:133], v[173:174], v[132:133]
	v_mul_f64 v[173:174], v[90:91], s[6:7]
	v_add_f64 v[134:135], v[16:17], v[134:135]
	v_add_f64 v[108:109], v[159:160], v[108:109]
	v_add_f64 v[159:160], v[30:31], -v[62:63]
	v_mul_f64 v[199:200], v[179:180], s[30:31]
	v_fma_f64 v[177:178], v[76:77], s[38:39], v[136:137]
	v_mul_f64 v[185:186], v[90:91], s[36:37]
	v_add_f64 v[120:121], v[169:170], v[120:121]
	v_mul_f64 v[187:188], v[78:79], s[36:37]
	v_add_f64 v[124:125], v[181:182], v[124:125]
	v_fma_f64 v[181:182], v[88:89], s[24:25], v[149:150]
	v_mul_f64 v[205:206], v[179:180], s[8:9]
	v_fma_f64 v[191:192], v[68:69], s[40:41], v[161:162]
	v_fma_f64 v[161:162], v[68:69], s[26:27], v[161:162]
	v_mul_f64 v[70:71], v[70:71], s[36:37]
	v_fma_f64 v[189:190], v[88:89], s[42:43], v[163:164]
	v_mul_f64 v[193:194], v[179:180], s[28:29]
	v_add_f64 v[169:170], v[64:65], v[32:33]
	v_add_f64 v[128:129], v[171:172], v[128:129]
	v_fma_f64 v[195:196], v[88:89], s[40:41], v[155:156]
	v_mul_f64 v[171:172], v[179:180], s[36:37]
	v_add_f64 v[132:133], v[183:184], v[132:133]
	v_fma_f64 v[183:184], v[88:89], s[58:59], v[173:174]
	v_add_f64 v[134:135], v[20:21], v[134:135]
	v_mul_f64 v[207:208], v[179:180], s[22:23]
	v_mul_f64 v[209:210], v[80:81], s[30:31]
	v_fma_f64 v[104:105], v[68:69], s[46:47], v[104:105]
	v_add_f64 v[112:113], v[177:178], v[112:113]
	v_fma_f64 v[177:178], v[88:89], s[48:49], v[175:176]
	v_fma_f64 v[197:198], v[88:89], s[54:55], v[185:186]
	;; [unrolled: 1-line block ×4, first 2 shown]
	v_add_f64 v[120:121], v[181:182], v[120:121]
	v_fma_f64 v[181:182], v[159:160], s[50:51], v[199:200]
	v_fma_f64 v[106:107], v[68:69], s[42:43], v[106:107]
	v_add_f64 v[161:162], v[0:1], v[161:162]
	v_mul_f64 v[78:79], v[78:79], s[8:9]
	v_fma_f64 v[98:99], v[68:69], s[38:39], v[98:99]
	v_fma_f64 v[82:83], v[68:69], s[48:49], v[82:83]
	v_fma_f64 v[96:97], v[68:69], s[58:59], v[96:97]
	v_mul_f64 v[203:204], v[179:180], s[6:7]
	v_add_f64 v[124:125], v[195:196], v[124:125]
	v_fma_f64 v[195:196], v[159:160], s[16:17], v[205:206]
	v_add_f64 v[191:192], v[0:1], v[191:192]
	v_add_f64 v[128:129], v[183:184], v[128:129]
	;; [unrolled: 1-line block ×4, first 2 shown]
	v_fma_f64 v[189:190], v[159:160], s[38:39], v[193:194]
	v_add_f64 v[211:212], v[34:35], -v[66:67]
	v_mul_f64 v[215:216], v[169:170], s[6:7]
	v_add_f64 v[112:113], v[177:178], v[112:113]
	v_fma_f64 v[177:178], v[159:160], s[54:55], v[171:172]
	v_fma_f64 v[86:87], v[68:69], s[52:53], v[86:87]
	v_add_f64 v[132:133], v[197:198], v[132:133]
	v_fma_f64 v[197:198], v[159:160], s[40:41], v[207:208]
	v_add_f64 v[120:121], v[181:182], v[120:121]
	v_fma_f64 v[181:182], v[68:69], s[54:55], v[70:71]
	v_fma_f64 v[68:69], v[68:69], s[56:57], v[70:71]
	v_mul_f64 v[219:220], v[84:85], s[8:9]
	v_add_f64 v[161:162], v[187:188], v[161:162]
	v_add_f64 v[104:105], v[0:1], v[104:105]
	v_fma_f64 v[126:127], v[72:73], s[44:45], v[126:127]
	v_add_f64 v[106:107], v[0:1], v[106:107]
	v_fma_f64 v[130:131], v[72:73], s[24:25], v[130:131]
	v_mul_f64 v[80:81], v[80:81], s[18:19]
	v_fma_f64 v[122:123], v[72:73], s[50:51], v[122:123]
	v_add_f64 v[128:129], v[195:196], v[128:129]
	v_add_f64 v[134:135], v[32:33], v[134:135]
	v_fma_f64 v[195:196], v[74:75], s[42:43], v[209:210]
	v_add_f64 v[98:99], v[0:1], v[98:99]
	v_add_f64 v[82:83], v[0:1], v[82:83]
	v_fma_f64 v[102:103], v[72:73], s[58:59], v[102:103]
	v_fma_f64 v[118:119], v[72:73], s[26:27], v[118:119]
	v_add_f64 v[96:97], v[0:1], v[96:97]
	v_fma_f64 v[183:184], v[159:160], s[58:59], v[203:204]
	v_add_f64 v[191:192], v[201:202], v[191:192]
	v_add_f64 v[108:109], v[189:190], v[108:109]
	v_fma_f64 v[189:190], v[74:75], s[50:51], v[209:210]
	v_add_f64 v[70:71], v[0:1], v[181:182]
	v_fma_f64 v[181:182], v[72:73], s[16:17], v[78:79]
	;; [unrolled: 2-line block ×3, first 2 shown]
	v_fma_f64 v[110:111], v[72:73], s[46:47], v[110:111]
	v_add_f64 v[86:87], v[0:1], v[86:87]
	v_add_f64 v[0:1], v[0:1], v[68:69]
	v_fma_f64 v[68:69], v[72:73], s[48:49], v[78:79]
	v_add_f64 v[132:133], v[197:198], v[132:133]
	v_mul_f64 v[197:198], v[90:91], s[20:21]
	v_add_f64 v[104:105], v[126:127], v[104:105]
	v_add_f64 v[134:135], v[40:41], v[134:135]
	v_add_f64 v[161:162], v[195:196], v[161:162]
	v_fma_f64 v[195:196], v[76:77], s[16:17], v[219:220]
	v_fma_f64 v[126:127], v[74:75], s[56:57], v[147:148]
	v_add_f64 v[72:73], v[130:131], v[106:107]
	v_fma_f64 v[106:107], v[74:75], s[24:25], v[80:81]
	v_add_f64 v[98:99], v[122:123], v[98:99]
	v_mul_f64 v[84:85], v[84:85], s[6:7]
	v_fma_f64 v[130:131], v[74:75], s[16:17], v[145:146]
	v_add_f64 v[82:83], v[102:103], v[82:83]
	v_add_f64 v[96:97], v[118:119], v[96:97]
	v_fma_f64 v[118:119], v[74:75], s[44:45], v[142:143]
	v_add_f64 v[70:71], v[181:182], v[70:71]
	v_add_f64 v[124:125], v[183:184], v[124:125]
	;; [unrolled: 1-line block ×4, first 2 shown]
	v_fma_f64 v[177:178], v[76:77], s[48:49], v[219:220]
	v_fma_f64 v[78:79], v[74:75], s[58:59], v[153:154]
	v_add_f64 v[86:87], v[110:111], v[86:87]
	v_fma_f64 v[100:101], v[74:75], s[46:47], v[100:101]
	v_fma_f64 v[110:111], v[74:75], s[40:41], v[138:139]
	v_add_f64 v[0:1], v[68:69], v[0:1]
	v_add_f64 v[134:135], v[36:37], v[134:135]
	v_fma_f64 v[68:69], v[74:75], s[52:53], v[80:81]
	v_add_f64 v[142:143], v[195:196], v[161:162]
	v_fma_f64 v[145:146], v[88:89], s[46:47], v[197:198]
	;; [unrolled: 2-line block ×3, first 2 shown]
	v_fma_f64 v[138:139], v[76:77], s[52:53], v[167:168]
	v_mul_f64 v[90:91], v[90:91], s[28:29]
	v_add_f64 v[98:99], v[130:131], v[98:99]
	v_fma_f64 v[130:131], v[76:77], s[54:55], v[165:166]
	v_fma_f64 v[136:137], v[76:77], s[44:45], v[136:137]
	v_add_f64 v[96:97], v[118:119], v[96:97]
	v_add_f64 v[70:71], v[106:107], v[70:71]
	v_fma_f64 v[106:107], v[76:77], s[14:15], v[84:85]
	v_mul_f64 v[217:218], v[169:170], s[20:21]
	v_fma_f64 v[147:148], v[88:89], s[52:53], v[149:150]
	v_add_f64 v[177:178], v[177:178], v[183:184]
	v_fma_f64 v[183:184], v[88:89], s[34:35], v[197:198]
	v_add_f64 v[72:73], v[78:79], v[72:73]
	;; [unrolled: 2-line block ×3, first 2 shown]
	v_add_f64 v[86:87], v[110:111], v[86:87]
	v_add_f64 v[102:103], v[64:65], v[134:135]
	v_fma_f64 v[100:101], v[76:77], s[26:27], v[140:141]
	v_add_f64 v[0:1], v[68:69], v[0:1]
	v_fma_f64 v[76:77], v[76:77], s[58:59], v[84:85]
	v_mul_f64 v[84:85], v[179:180], s[18:19]
	v_add_f64 v[142:143], v[145:146], v[142:143]
	v_add_f64 v[104:105], v[126:127], v[104:105]
	v_fma_f64 v[126:127], v[88:89], s[14:15], v[173:174]
	v_add_f64 v[98:99], v[138:139], v[98:99]
	v_fma_f64 v[138:139], v[88:89], s[44:45], v[90:91]
	v_mul_f64 v[145:146], v[179:180], s[20:21]
	v_add_f64 v[96:97], v[130:131], v[96:97]
	v_fma_f64 v[149:150], v[88:89], s[26:27], v[155:156]
	v_add_f64 v[70:71], v[106:107], v[70:71]
	v_mul_f64 v[213:214], v[169:170], s[18:19]
	v_fma_f64 v[140:141], v[88:89], s[56:57], v[185:186]
	v_fma_f64 v[151:152], v[88:89], s[16:17], v[175:176]
	v_add_f64 v[74:75], v[183:184], v[177:178]
	v_add_f64 v[122:123], v[36:37], v[40:41]
	;; [unrolled: 1-line block ×3, first 2 shown]
	v_mul_f64 v[161:162], v[169:170], s[30:31]
	v_add_f64 v[86:87], v[136:137], v[86:87]
	v_add_f64 v[102:103], v[60:61], v[102:103]
	;; [unrolled: 1-line block ×3, first 2 shown]
	v_fma_f64 v[136:137], v[88:89], s[50:51], v[163:164]
	v_add_f64 v[0:1], v[76:77], v[0:1]
	v_fma_f64 v[76:77], v[159:160], s[52:53], v[84:85]
	v_fma_f64 v[84:85], v[159:160], s[24:25], v[84:85]
	;; [unrolled: 1-line block ×3, first 2 shown]
	v_add_f64 v[104:105], v[126:127], v[104:105]
	v_mul_f64 v[126:127], v[169:170], s[28:29]
	v_fma_f64 v[187:188], v[211:212], s[46:47], v[217:218]
	v_mul_f64 v[189:190], v[169:170], s[36:37]
	v_add_f64 v[96:97], v[147:148], v[96:97]
	v_add_f64 v[98:99], v[149:150], v[98:99]
	;; [unrolled: 1-line block ×3, first 2 shown]
	v_fma_f64 v[138:139], v[159:160], s[34:35], v[145:146]
	v_fma_f64 v[147:148], v[159:160], s[42:43], v[199:200]
	;; [unrolled: 1-line block ×4, first 2 shown]
	v_mul_f64 v[191:192], v[169:170], s[22:23]
	v_mul_f64 v[78:79], v[169:170], s[8:9]
	v_add_f64 v[72:73], v[140:141], v[72:73]
	v_fma_f64 v[157:158], v[159:160], s[26:27], v[207:208]
	v_add_f64 v[102:103], v[56:57], v[102:103]
	v_add_f64 v[86:87], v[151:152], v[86:87]
	;; [unrolled: 1-line block ×3, first 2 shown]
	v_fma_f64 v[136:137], v[159:160], s[44:45], v[193:194]
	v_fma_f64 v[151:152], v[159:160], s[56:57], v[171:172]
	v_add_f64 v[74:75], v[76:77], v[74:75]
	v_add_f64 v[76:77], v[84:85], v[142:143]
	;; [unrolled: 1-line block ×3, first 2 shown]
	v_fma_f64 v[84:85], v[159:160], s[46:47], v[145:146]
	v_fma_f64 v[155:156], v[159:160], s[48:49], v[205:206]
	v_add_f64 v[80:81], v[42:43], -v[38:39]
	v_mul_f64 v[118:119], v[122:123], s[36:37]
	v_mul_f64 v[134:135], v[122:123], s[30:31]
	;; [unrolled: 1-line block ×6, first 2 shown]
	v_fma_f64 v[88:89], v[211:212], s[44:45], v[126:127]
	v_mul_f64 v[142:143], v[122:123], s[6:7]
	v_add_f64 v[70:71], v[138:139], v[70:71]
	v_fma_f64 v[138:139], v[211:212], s[50:51], v[161:162]
	v_mul_f64 v[122:123], v[122:123], s[22:23]
	v_add_f64 v[102:103], v[52:53], v[102:103]
	v_add_f64 v[120:121], v[187:188], v[120:121]
	v_fma_f64 v[187:188], v[211:212], s[54:55], v[189:190]
	v_add_f64 v[96:97], v[147:148], v[96:97]
	v_add_f64 v[98:99], v[149:150], v[98:99]
	v_fma_f64 v[147:148], v[211:212], s[34:35], v[217:218]
	v_fma_f64 v[149:150], v[211:212], s[56:57], v[189:190]
	v_add_f64 v[108:109], v[201:202], v[108:109]
	v_fma_f64 v[201:202], v[211:212], s[40:41], v[191:192]
	v_fma_f64 v[90:91], v[211:212], s[48:49], v[78:79]
	;; [unrolled: 1-line block ×3, first 2 shown]
	v_add_f64 v[72:73], v[157:158], v[72:73]
	v_fma_f64 v[78:79], v[211:212], s[16:17], v[78:79]
	v_add_f64 v[82:83], v[136:137], v[82:83]
	v_add_f64 v[86:87], v[151:152], v[86:87]
	v_fma_f64 v[136:137], v[211:212], s[24:25], v[213:214]
	v_fma_f64 v[151:152], v[211:212], s[58:59], v[215:216]
	v_add_f64 v[0:1], v[84:85], v[0:1]
	v_fma_f64 v[84:85], v[211:212], s[42:43], v[161:162]
	v_add_f64 v[104:105], v[155:156], v[104:105]
	v_fma_f64 v[145:146], v[211:212], s[26:27], v[191:192]
	v_fma_f64 v[106:107], v[80:81], s[56:57], v[118:119]
	v_add_f64 v[102:103], v[48:49], v[102:103]
	v_fma_f64 v[130:131], v[80:81], s[50:51], v[134:135]
	v_add_f64 v[74:75], v[88:89], v[74:75]
	;; [unrolled: 2-line block ×4, first 2 shown]
	v_fma_f64 v[100:101], v[80:81], s[48:49], v[110:111]
	v_fma_f64 v[153:154], v[80:81], s[34:35], v[68:69]
	v_add_f64 v[96:97], v[147:148], v[96:97]
	v_add_f64 v[98:99], v[149:150], v[98:99]
	v_fma_f64 v[110:111], v[80:81], s[16:17], v[110:111]
	v_fma_f64 v[68:69], v[80:81], s[46:47], v[68:69]
	v_add_f64 v[128:129], v[201:202], v[128:129]
	v_add_f64 v[90:91], v[90:91], v[132:133]
	v_fma_f64 v[132:133], v[80:81], s[52:53], v[140:141]
	v_fma_f64 v[155:156], v[80:81], s[44:45], v[163:164]
	v_add_f64 v[76:77], v[126:127], v[76:77]
	v_fma_f64 v[126:127], v[80:81], s[14:15], v[142:143]
	v_add_f64 v[72:73], v[78:79], v[72:73]
	v_fma_f64 v[78:79], v[80:81], s[24:25], v[140:141]
	v_fma_f64 v[140:141], v[80:81], s[38:39], v[163:164]
	v_add_f64 v[102:103], v[44:45], v[102:103]
	v_add_f64 v[82:83], v[136:137], v[82:83]
	;; [unrolled: 1-line block ×3, first 2 shown]
	v_fma_f64 v[118:119], v[80:81], s[54:55], v[118:119]
	v_fma_f64 v[134:135], v[80:81], s[42:43], v[134:135]
	v_add_f64 v[0:1], v[84:85], v[0:1]
	v_fma_f64 v[80:81], v[80:81], s[26:27], v[122:123]
	v_add_f64 v[104:105], v[145:146], v[104:105]
	v_add_f64 v[84:85], v[106:107], v[108:109]
	;; [unrolled: 1-line block ×10, first 2 shown]
	v_mad_u32_u24 v122, 0x88, v114, 0
	v_add_f64 v[76:77], v[126:127], v[76:77]
	v_cmp_gt_u32_e64 s0, 34, v114
	v_lshl_add_u32 v121, v115, 3, 0
	v_add_f64 v[72:73], v[140:141], v[72:73]
	v_add_f64 v[88:89], v[24:25], v[102:103]
	;; [unrolled: 1-line block ×5, first 2 shown]
	v_lshl_add_u32 v118, v116, 3, 0
	v_add_f64 v[98:99], v[80:81], v[0:1]
	v_add_f64 v[78:79], v[78:79], v[104:105]
	v_lshlrev_b32_e32 v0, 7, v114
	v_lshl_add_u32 v119, v117, 3, 0
	ds_write2_b64 v122, v[84:85], v[106:107] offset0:2 offset1:3
	ds_write2_b64 v122, v[100:101], v[108:109] offset0:4 offset1:5
	;; [unrolled: 1-line block ×5, first 2 shown]
	v_sub_nc_u32_e32 v1, v122, v0
	ds_write2_b64 v122, v[88:89], v[70:71] offset1:1
	ds_write2_b64 v122, v[68:69], v[102:103] offset0:12 offset1:13
	ds_write2_b64 v122, v[82:83], v[96:97] offset0:14 offset1:15
	s_load_dwordx2 s[4:5], s[4:5], 0x0
	ds_write_b64 v122, v[98:99] offset:128
	s_waitcnt lgkmcnt(0)
	v_add_nc_u32_e32 v68, 0x800, v1
	v_add_nc_u32_e32 v69, 0xc00, v1
	v_add_nc_u32_e32 v72, 0x1800, v1
	v_add_nc_u32_e32 v73, 0x2000, v1
	v_add_nc_u32_e32 v76, 0x1000, v1
	v_add_nc_u32_e32 v77, 0x2400, v1
	s_barrier
	buffer_gl0_inv
	ds_read_b64 v[108:109], v118
	ds_read_b64 v[110:111], v1
	;; [unrolled: 1-line block ×3, first 2 shown]
	ds_read2_b64 v[84:87], v68 offset0:33 offset1:118
	ds_read2_b64 v[68:71], v69 offset0:75 offset1:194
	;; [unrolled: 1-line block ×6, first 2 shown]
	v_sub_nc_u32_e32 v0, 0, v0
                                        ; implicit-def: $vgpr100_vgpr101
                                        ; implicit-def: $vgpr102_vgpr103
                                        ; implicit-def: $vgpr104_vgpr105
	v_add_nc_u32_e32 v120, v122, v0
	s_and_saveexec_b32 s1, s0
	s_cbranch_execz .LBB0_15
; %bb.14:
	ds_read_b64 v[96:97], v121
	ds_read_b64 v[98:99], v120 offset:4352
	ds_read_b64 v[104:105], v120 offset:6664
	;; [unrolled: 1-line block ×4, first 2 shown]
.LBB0_15:
	s_or_b32 exec_lo, exec_lo, s1
	v_add_f64 v[0:1], v[14:15], v[2:3]
	v_add_f64 v[12:13], v[12:13], -v[24:25]
	v_add_f64 v[36:37], v[40:41], -v[36:37]
	v_add_f64 v[14:15], v[26:27], v[14:15]
	v_add_f64 v[8:9], v[8:9], -v[48:49]
	v_add_f64 v[4:5], v[4:5], -v[44:45]
	;; [unrolled: 1-line block ×6, first 2 shown]
	s_waitcnt lgkmcnt(0)
	s_barrier
	buffer_gl0_inv
	v_add_f64 v[0:1], v[6:7], v[0:1]
	v_mul_f64 v[40:41], v[12:13], s[48:49]
	v_add_f64 v[6:7], v[46:47], v[6:7]
	v_mul_f64 v[48:49], v[12:13], s[58:59]
	v_mul_f64 v[44:45], v[12:13], s[38:39]
	;; [unrolled: 1-line block ×5, first 2 shown]
	v_add_f64 v[0:1], v[10:11], v[0:1]
	v_add_f64 v[10:11], v[50:51], v[10:11]
	v_fma_f64 v[60:61], v[14:15], s[28:29], v[44:45]
	v_fma_f64 v[44:45], v[14:15], s[28:29], -v[44:45]
	v_fma_f64 v[137:138], v[6:7], s[30:31], v[123:124]
	v_fma_f64 v[123:124], v[6:7], s[30:31], -v[123:124]
	v_fma_f64 v[139:140], v[6:7], s[28:29], v[125:126]
	v_fma_f64 v[125:126], v[6:7], s[28:29], -v[125:126]
	v_fma_f64 v[141:142], v[6:7], s[18:19], v[127:128]
	v_fma_f64 v[127:128], v[6:7], s[18:19], -v[127:128]
	v_add_f64 v[0:1], v[18:19], v[0:1]
	v_add_f64 v[18:19], v[54:55], v[18:19]
	;; [unrolled: 1-line block ×6, first 2 shown]
	v_mul_f64 v[123:124], v[8:9], s[56:57]
	v_add_f64 v[0:1], v[30:31], v[0:1]
	v_add_f64 v[30:31], v[62:63], v[30:31]
	;; [unrolled: 1-line block ×6, first 2 shown]
	v_mul_f64 v[42:43], v[12:13], s[52:53]
	v_add_f64 v[38:39], v[38:39], v[112:113]
	v_mul_f64 v[112:113], v[4:5], s[26:27]
	v_fma_f64 v[56:57], v[14:15], s[18:19], v[42:43]
	v_fma_f64 v[42:43], v[14:15], s[18:19], -v[42:43]
	v_add_f64 v[38:39], v[66:67], v[38:39]
	v_fma_f64 v[135:136], v[6:7], s[22:23], v[112:113]
	v_fma_f64 v[112:113], v[6:7], s[22:23], -v[112:113]
	v_add_f64 v[42:43], v[2:3], v[42:43]
	v_add_f64 v[38:39], v[62:63], v[38:39]
	;; [unrolled: 1-line block ×3, first 2 shown]
	v_fma_f64 v[58:59], v[14:15], s[6:7], v[48:49]
	v_fma_f64 v[48:49], v[14:15], s[6:7], -v[48:49]
	v_add_f64 v[38:39], v[54:55], v[38:39]
	v_fma_f64 v[54:55], v[14:15], s[8:9], v[40:41]
	v_fma_f64 v[40:41], v[14:15], s[8:9], -v[40:41]
	v_add_f64 v[48:49], v[2:3], v[48:49]
	v_add_f64 v[24:25], v[50:51], v[38:39]
	v_mul_f64 v[38:39], v[12:13], s[56:57]
	v_mul_f64 v[50:51], v[12:13], s[42:43]
	v_add_f64 v[40:41], v[2:3], v[40:41]
	v_add_f64 v[48:49], v[112:113], v[48:49]
	v_mul_f64 v[112:113], v[8:9], s[16:17]
	v_add_f64 v[24:25], v[46:47], v[24:25]
	v_mul_f64 v[46:47], v[12:13], s[46:47]
	v_mul_f64 v[12:13], v[12:13], s[26:27]
	v_fma_f64 v[52:53], v[14:15], s[36:37], v[38:39]
	v_fma_f64 v[38:39], v[14:15], s[36:37], -v[38:39]
	v_fma_f64 v[64:65], v[14:15], s[30:31], v[50:51]
	v_fma_f64 v[50:51], v[14:15], s[30:31], -v[50:51]
	;; [unrolled: 2-line block ×4, first 2 shown]
	v_add_f64 v[14:15], v[2:3], v[52:53]
	v_add_f64 v[38:39], v[2:3], v[38:39]
	;; [unrolled: 1-line block ×13, first 2 shown]
	v_mul_f64 v[24:25], v[4:5], s[48:49]
	v_mul_f64 v[26:27], v[4:5], s[58:59]
	;; [unrolled: 1-line block ×4, first 2 shown]
	v_add_f64 v[50:51], v[127:128], v[50:51]
	v_add_f64 v[46:47], v[125:126], v[46:47]
	v_mul_f64 v[125:126], v[8:9], s[58:59]
	v_fma_f64 v[129:130], v[6:7], s[8:9], v[24:25]
	v_fma_f64 v[24:25], v[6:7], s[8:9], -v[24:25]
	v_fma_f64 v[131:132], v[6:7], s[6:7], v[26:27]
	v_fma_f64 v[26:27], v[6:7], s[6:7], -v[26:27]
	;; [unrolled: 2-line block ×5, first 2 shown]
	v_add_f64 v[6:7], v[129:130], v[14:15]
	v_add_f64 v[14:15], v[24:25], v[38:39]
	;; [unrolled: 1-line block ×9, first 2 shown]
	v_mul_f64 v[56:57], v[8:9], s[52:53]
	v_mul_f64 v[58:59], v[8:9], s[46:47]
	v_mul_f64 v[60:61], v[8:9], s[40:41]
	v_mul_f64 v[66:67], v[8:9], s[44:45]
	v_mul_f64 v[8:9], v[8:9], s[42:43]
	v_fma_f64 v[137:138], v[10:11], s[8:9], v[112:113]
	v_fma_f64 v[139:140], v[10:11], s[36:37], v[123:124]
	v_fma_f64 v[112:113], v[10:11], s[8:9], -v[112:113]
	v_fma_f64 v[123:124], v[10:11], s[36:37], -v[123:124]
	v_add_f64 v[4:5], v[4:5], v[12:13]
	v_fma_f64 v[129:130], v[10:11], s[18:19], v[56:57]
	v_fma_f64 v[56:57], v[10:11], s[18:19], -v[56:57]
	v_fma_f64 v[131:132], v[10:11], s[20:21], v[58:59]
	v_fma_f64 v[58:59], v[10:11], s[20:21], -v[58:59]
	;; [unrolled: 2-line block ×5, first 2 shown]
	v_add_f64 v[10:11], v[141:142], v[62:63]
	v_add_f64 v[62:63], v[145:146], v[64:65]
	v_mul_f64 v[64:65], v[16:17], s[52:53]
	v_add_f64 v[44:45], v[112:113], v[44:45]
	v_add_f64 v[46:47], v[123:124], v[46:47]
	v_mul_f64 v[112:113], v[16:17], s[34:35]
	v_add_f64 v[6:7], v[129:130], v[6:7]
	v_add_f64 v[12:13], v[56:57], v[14:15]
	;; [unrolled: 1-line block ×10, first 2 shown]
	v_mul_f64 v[54:55], v[16:17], s[58:59]
	v_mul_f64 v[56:57], v[16:17], s[26:27]
	;; [unrolled: 1-line block ×6, first 2 shown]
	v_fma_f64 v[133:134], v[18:19], s[18:19], v[64:65]
	v_fma_f64 v[64:65], v[18:19], s[18:19], -v[64:65]
	v_fma_f64 v[137:138], v[18:19], s[20:21], v[112:113]
	v_fma_f64 v[112:113], v[18:19], s[20:21], -v[112:113]
	v_add_f64 v[4:5], v[8:9], v[4:5]
	v_add_f64 v[10:11], v[147:148], v[10:11]
	v_fma_f64 v[123:124], v[18:19], s[6:7], v[54:55]
	v_fma_f64 v[54:55], v[18:19], s[6:7], -v[54:55]
	v_fma_f64 v[127:128], v[18:19], s[22:23], v[56:57]
	v_fma_f64 v[56:57], v[18:19], s[22:23], -v[56:57]
	;; [unrolled: 2-line block ×6, first 2 shown]
	v_add_f64 v[18:19], v[125:126], v[50:51]
	v_add_f64 v[50:51], v[149:150], v[62:63]
	v_mul_f64 v[62:63], v[20:21], s[14:15]
	v_add_f64 v[44:45], v[64:65], v[44:45]
	v_mul_f64 v[64:65], v[20:21], s[56:57]
	v_add_f64 v[10:11], v[137:138], v[10:11]
	v_add_f64 v[6:7], v[123:124], v[6:7]
	v_add_f64 v[8:9], v[54:55], v[12:13]
	v_add_f64 v[12:13], v[127:128], v[14:15]
	v_add_f64 v[14:15], v[56:57], v[24:25]
	v_add_f64 v[24:25], v[129:130], v[26:27]
	v_add_f64 v[26:27], v[58:59], v[38:39]
	v_add_f64 v[38:39], v[131:132], v[40:41]
	v_add_f64 v[40:41], v[60:61], v[42:43]
	v_add_f64 v[42:43], v[133:134], v[48:49]
	v_add_f64 v[48:49], v[135:136], v[52:53]
	v_mul_f64 v[52:53], v[20:21], s[38:39]
	v_mul_f64 v[54:55], v[20:21], s[50:51]
	;; [unrolled: 1-line block ×5, first 2 shown]
	v_add_f64 v[46:47], v[66:67], v[46:47]
	v_mul_f64 v[20:21], v[20:21], s[46:47]
	v_fma_f64 v[131:132], v[22:23], s[6:7], v[62:63]
	v_fma_f64 v[62:63], v[22:23], s[6:7], -v[62:63]
	v_fma_f64 v[133:134], v[22:23], s[36:37], v[64:65]
	v_fma_f64 v[64:65], v[22:23], s[36:37], -v[64:65]
	v_add_f64 v[4:5], v[16:17], v[4:5]
	v_add_f64 v[18:19], v[112:113], v[18:19]
	v_fma_f64 v[66:67], v[22:23], s[28:29], v[52:53]
	v_fma_f64 v[52:53], v[22:23], s[28:29], -v[52:53]
	v_fma_f64 v[123:124], v[22:23], s[30:31], v[54:55]
	v_fma_f64 v[54:55], v[22:23], s[30:31], -v[54:55]
	;; [unrolled: 2-line block ×6, first 2 shown]
	v_add_f64 v[22:23], v[139:140], v[50:51]
	v_mul_f64 v[50:51], v[28:29], s[44:45]
	v_add_f64 v[46:47], v[62:63], v[46:47]
	v_add_f64 v[18:19], v[64:65], v[18:19]
	;; [unrolled: 1-line block ×5, first 2 shown]
	v_mul_f64 v[52:53], v[28:29], s[56:57]
	v_add_f64 v[14:15], v[54:55], v[14:15]
	v_add_f64 v[16:17], v[125:126], v[24:25]
	;; [unrolled: 1-line block ×8, first 2 shown]
	v_mul_f64 v[48:49], v[28:29], s[46:47]
	v_mul_f64 v[54:55], v[28:29], s[42:43]
	;; [unrolled: 1-line block ×4, first 2 shown]
	v_add_f64 v[12:13], v[123:124], v[12:13]
	v_mul_f64 v[60:61], v[28:29], s[26:27]
	v_mul_f64 v[28:29], v[28:29], s[24:25]
	v_fma_f64 v[66:67], v[30:31], s[28:29], v[50:51]
	v_fma_f64 v[50:51], v[30:31], s[28:29], -v[50:51]
	v_add_f64 v[4:5], v[20:21], v[4:5]
	v_add_f64 v[22:23], v[135:136], v[22:23]
	v_fma_f64 v[112:113], v[30:31], s[36:37], v[52:53]
	v_fma_f64 v[52:53], v[30:31], s[36:37], -v[52:53]
	v_fma_f64 v[62:63], v[30:31], s[20:21], v[48:49]
	v_fma_f64 v[48:49], v[30:31], s[20:21], -v[48:49]
	;; [unrolled: 2-line block ×7, first 2 shown]
	v_add_f64 v[14:15], v[50:51], v[14:15]
	v_mul_f64 v[50:51], v[32:33], s[34:35]
	v_add_f64 v[20:21], v[52:53], v[24:25]
	v_mul_f64 v[52:53], v[32:33], s[56:57]
	v_add_f64 v[12:13], v[66:67], v[12:13]
	v_add_f64 v[16:17], v[112:113], v[16:17]
	;; [unrolled: 1-line block ×8, first 2 shown]
	v_mul_f64 v[40:41], v[32:33], s[42:43]
	v_add_f64 v[42:43], v[127:128], v[44:45]
	v_mul_f64 v[44:45], v[32:33], s[24:25]
	v_mul_f64 v[48:49], v[32:33], s[58:59]
	v_add_f64 v[46:47], v[58:59], v[46:47]
	v_mul_f64 v[54:55], v[32:33], s[26:27]
	v_mul_f64 v[56:57], v[32:33], s[16:17]
	v_mul_f64 v[32:33], v[32:33], s[38:39]
	v_fma_f64 v[66:67], v[34:35], s[20:21], v[50:51]
	v_fma_f64 v[50:51], v[34:35], s[20:21], -v[50:51]
	v_fma_f64 v[112:113], v[34:35], s[36:37], v[52:53]
	v_fma_f64 v[52:53], v[34:35], s[36:37], -v[52:53]
	v_add_f64 v[4:5], v[28:29], v[4:5]
	v_add_f64 v[18:19], v[60:61], v[18:19]
	;; [unrolled: 1-line block ×4, first 2 shown]
	v_fma_f64 v[58:59], v[34:35], s[30:31], v[40:41]
	v_fma_f64 v[40:41], v[34:35], s[30:31], -v[40:41]
	v_fma_f64 v[62:63], v[34:35], s[18:19], v[44:45]
	v_fma_f64 v[44:45], v[34:35], s[18:19], -v[44:45]
	;; [unrolled: 2-line block ×6, first 2 shown]
	v_add_f64 v[28:29], v[50:51], v[26:27]
	v_mul_f64 v[26:27], v[36:37], s[54:55]
	v_mul_f64 v[34:35], v[36:37], s[42:43]
	v_add_f64 v[38:39], v[52:53], v[38:39]
	v_mul_f64 v[50:51], v[36:37], s[38:39]
	v_mul_f64 v[52:53], v[36:37], s[14:15]
	v_add_f64 v[24:25], v[66:67], v[24:25]
	v_add_f64 v[30:31], v[112:113], v[30:31]
	;; [unrolled: 1-line block ×4, first 2 shown]
	v_mul_f64 v[40:41], v[36:37], s[16:17]
	v_add_f64 v[14:15], v[44:45], v[14:15]
	v_mul_f64 v[44:45], v[36:37], s[46:47]
	v_add_f64 v[20:21], v[48:49], v[20:21]
	v_mul_f64 v[48:49], v[36:37], s[24:25]
	v_mul_f64 v[36:37], v[36:37], s[26:27]
	v_add_f64 v[12:13], v[62:63], v[12:13]
	v_add_f64 v[16:17], v[64:65], v[16:17]
	;; [unrolled: 1-line block ×5, first 2 shown]
	v_fma_f64 v[54:55], v[0:1], s[36:37], v[26:27]
	v_fma_f64 v[26:27], v[0:1], s[36:37], -v[26:27]
	v_fma_f64 v[32:33], v[0:1], s[30:31], v[34:35]
	v_add_f64 v[42:43], v[123:124], v[42:43]
	v_add_f64 v[10:11], v[125:126], v[10:11]
	v_fma_f64 v[62:63], v[0:1], s[28:29], v[50:51]
	v_add_f64 v[22:23], v[127:128], v[22:23]
	v_fma_f64 v[64:65], v[0:1], s[6:7], v[52:53]
	v_fma_f64 v[52:53], v[0:1], s[6:7], -v[52:53]
	v_fma_f64 v[50:51], v[0:1], s[28:29], -v[50:51]
	;; [unrolled: 1-line block ×3, first 2 shown]
	v_fma_f64 v[56:57], v[0:1], s[8:9], v[40:41]
	v_fma_f64 v[40:41], v[0:1], s[8:9], -v[40:41]
	v_fma_f64 v[58:59], v[0:1], s[20:21], v[44:45]
	v_fma_f64 v[44:45], v[0:1], s[20:21], -v[44:45]
	v_fma_f64 v[60:61], v[0:1], s[18:19], v[48:49]
	v_fma_f64 v[66:67], v[0:1], s[22:23], v[36:37]
	v_fma_f64 v[48:49], v[0:1], s[18:19], -v[48:49]
	v_fma_f64 v[0:1], v[0:1], s[22:23], -v[36:37]
	v_add_f64 v[12:13], v[54:55], v[12:13]
	v_add_f64 v[26:27], v[26:27], v[14:15]
	;; [unrolled: 1-line block ×16, first 2 shown]
	ds_write2_b64 v122, v[2:3], v[6:7] offset1:1
	ds_write2_b64 v122, v[12:13], v[14:15] offset0:2 offset1:3
	ds_write2_b64 v122, v[16:17], v[28:29] offset0:4 offset1:5
	ds_write2_b64 v122, v[30:31], v[10:11] offset0:6 offset1:7
	ds_write2_b64 v122, v[22:23], v[4:5] offset0:8 offset1:9
	ds_write2_b64 v122, v[18:19], v[36:37] offset0:10 offset1:11
	ds_write2_b64 v122, v[38:39], v[24:25] offset0:12 offset1:13
	ds_write2_b64 v122, v[20:21], v[26:27] offset0:14 offset1:15
	ds_write_b64 v122, v[32:33] offset:128
	v_add_nc_u32_e32 v0, 0x800, v120
	v_add_nc_u32_e32 v4, 0xc00, v120
	;; [unrolled: 1-line block ×6, first 2 shown]
	s_waitcnt lgkmcnt(0)
	s_barrier
	buffer_gl0_inv
	ds_read2_b64 v[0:3], v0 offset0:33 offset1:118
	ds_read2_b64 v[4:7], v4 offset0:75 offset1:194
	;; [unrolled: 1-line block ×4, first 2 shown]
	ds_read_b64 v[24:25], v118
	ds_read2_b64 v[12:15], v12 offset0:151 offset1:236
	ds_read2_b64 v[20:23], v20 offset0:89 offset1:174
	ds_read_b64 v[30:31], v120
	ds_read_b64 v[28:29], v119
                                        ; implicit-def: $vgpr34_vgpr35
                                        ; implicit-def: $vgpr36_vgpr37
                                        ; implicit-def: $vgpr38_vgpr39
	s_and_saveexec_b32 s1, s0
	s_cbranch_execz .LBB0_17
; %bb.16:
	ds_read_b64 v[26:27], v121
	ds_read_b64 v[32:33], v120 offset:4352
	ds_read_b64 v[38:39], v120 offset:6664
	;; [unrolled: 1-line block ×4, first 2 shown]
.LBB0_17:
	s_or_b32 exec_lo, exec_lo, s1
	v_and_b32_e32 v40, 0xff, v114
	v_and_b32_e32 v41, 0xff, v116
	;; [unrolled: 1-line block ×3, first 2 shown]
	v_mov_b32_e32 v56, 6
	v_mov_b32_e32 v58, 0xf0f1
	v_mul_lo_u16 v40, 0xf1, v40
	v_mul_lo_u16 v41, 0xf1, v41
	s_mov_b32 s14, 0x134454ff
	s_mov_b32 s15, 0x3fee6f0e
	;; [unrolled: 1-line block ×3, first 2 shown]
	v_lshrrev_b16 v185, 12, v40
	v_mul_lo_u16 v40, 0xf1, v42
	v_lshrrev_b16 v186, 12, v41
	s_mov_b32 s18, s14
	s_mov_b32 s8, 0x4755a5e
	v_mul_lo_u16 v41, v185, 17
	v_lshrrev_b16 v187, 12, v40
	v_mul_lo_u16 v40, v186, 17
	s_mov_b32 s9, 0x3fe2cf23
	s_mov_b32 s17, 0xbfe2cf23
	v_sub_nc_u16 v188, v114, v41
	v_mul_lo_u16 v41, v187, 17
	v_sub_nc_u16 v189, v116, v40
	s_mov_b32 s16, s8
	s_mov_b32 s6, 0x372fe950
	v_lshlrev_b32_sdwa v52, v56, v188 dst_sel:DWORD dst_unused:UNUSED_PAD src0_sel:DWORD src1_sel:BYTE_0
	v_sub_nc_u16 v117, v117, v41
	v_lshlrev_b32_sdwa v57, v56, v189 dst_sel:DWORD dst_unused:UNUSED_PAD src0_sel:DWORD src1_sel:BYTE_0
	s_mov_b32 s7, 0x3fd3c6ef
	v_mov_b32_e32 v191, 0x2a8
	s_clause 0x1
	global_load_dwordx4 v[40:43], v52, s[12:13] offset:16
	global_load_dwordx4 v[44:47], v52, s[12:13]
	v_lshlrev_b32_sdwa v59, v56, v117 dst_sel:DWORD dst_unused:UNUSED_PAD src0_sel:DWORD src1_sel:BYTE_0
	s_clause 0x7
	global_load_dwordx4 v[48:51], v52, s[12:13] offset:48
	global_load_dwordx4 v[52:55], v52, s[12:13] offset:32
	;; [unrolled: 1-line block ×3, first 2 shown]
	global_load_dwordx4 v[126:129], v57, s[12:13]
	global_load_dwordx4 v[130:133], v57, s[12:13] offset:48
	global_load_dwordx4 v[134:137], v57, s[12:13] offset:32
	;; [unrolled: 1-line block ×3, first 2 shown]
	global_load_dwordx4 v[145:148], v59, s[12:13]
	v_mul_u32_u24_sdwa v57, v115, v58 dst_sel:DWORD dst_unused:UNUSED_PAD src0_sel:WORD_0 src1_sel:DWORD
	v_mov_b32_e32 v116, 3
	s_clause 0x1
	global_load_dwordx4 v[149:152], v59, s[12:13] offset:32
	global_load_dwordx4 v[153:156], v59, s[12:13] offset:48
	v_lshrrev_b32_e32 v190, 20, v57
	v_lshlrev_b32_sdwa v117, v116, v117 dst_sel:DWORD dst_unused:UNUSED_PAD src0_sel:DWORD src1_sel:BYTE_0
	v_mul_lo_u16 v57, v190, 17
	v_sub_nc_u16 v115, v115, v57
	v_lshlrev_b32_sdwa v56, v56, v115 dst_sel:DWORD dst_unused:UNUSED_PAD src0_sel:DWORD src1_sel:WORD_0
	s_clause 0x3
	global_load_dwordx4 v[157:160], v56, s[12:13]
	global_load_dwordx4 v[161:164], v56, s[12:13] offset:16
	global_load_dwordx4 v[165:168], v56, s[12:13] offset:32
	;; [unrolled: 1-line block ×3, first 2 shown]
	s_waitcnt vmcnt(0) lgkmcnt(0)
	s_barrier
	buffer_gl0_inv
	v_mul_f64 v[62:63], v[10:11], v[50:51]
	v_mul_f64 v[60:61], v[16:17], v[54:55]
	;; [unrolled: 1-line block ×22, first 2 shown]
	v_fma_f64 v[74:75], v[74:75], v[48:49], -v[62:63]
	v_fma_f64 v[88:89], v[88:89], v[52:53], -v[60:61]
	v_mul_f64 v[140:141], v[82:83], v[140:141]
	v_fma_f64 v[60:61], v[86:87], v[126:127], -v[64:65]
	v_fma_f64 v[112:113], v[70:71], v[40:41], -v[58:59]
	;; [unrolled: 1-line block ×8, first 2 shown]
	v_mul_f64 v[151:152], v[72:73], v[151:152]
	v_fma_f64 v[64:65], v[68:69], v[145:146], -v[175:176]
	v_fma_f64 v[68:69], v[78:79], v[153:154], -v[181:182]
	v_fma_f64 v[76:77], v[0:1], v[44:45], v[46:47]
	v_fma_f64 v[54:55], v[6:7], v[40:41], v[42:43]
	;; [unrolled: 1-line block ×11, first 2 shown]
	v_add_f64 v[130:131], v[108:109], v[60:61]
	v_add_f64 v[18:19], v[112:113], v[88:89]
	;; [unrolled: 1-line block ×5, first 2 shown]
	v_mul_f64 v[78:79], v[32:33], v[159:160]
	v_add_f64 v[22:23], v[60:61], v[70:71]
	v_add_f64 v[44:45], v[58:59], v[66:67]
	v_fma_f64 v[8:9], v[8:9], v[149:150], v[151:152]
	v_add_f64 v[132:133], v[106:107], v[64:65]
	v_add_f64 v[46:47], v[64:65], v[68:69]
	v_mul_f64 v[80:81], v[98:99], v[159:160]
	v_mul_f64 v[40:41], v[38:39], v[163:164]
	v_add_f64 v[90:91], v[76:77], -v[0:1]
	v_add_f64 v[122:123], v[54:55], -v[6:7]
	v_mul_f64 v[50:51], v[104:105], v[163:164]
	v_add_f64 v[124:125], v[84:85], -v[112:113]
	v_add_f64 v[134:135], v[72:73], -v[2:3]
	;; [unrolled: 1-line block ×7, first 2 shown]
	v_fma_f64 v[18:19], v[18:19], -0.5, v[110:111]
	v_fma_f64 v[20:21], v[20:21], -0.5, v[110:111]
	v_add_f64 v[110:111], v[12:13], -v[10:11]
	v_fma_f64 v[42:43], v[42:43], -0.5, v[108:109]
	v_add_f64 v[142:143], v[56:57], -v[60:61]
	v_fma_f64 v[22:23], v[22:23], -0.5, v[108:109]
	v_fma_f64 v[44:45], v[44:45], -0.5, v[106:107]
	v_add_f64 v[108:109], v[14:15], -v[8:9]
	v_add_f64 v[145:146], v[62:63], -v[70:71]
	v_fma_f64 v[46:47], v[46:47], -0.5, v[106:107]
	v_add_f64 v[106:107], v[88:89], -v[74:75]
	v_add_f64 v[147:148], v[64:65], -v[58:59]
	;; [unrolled: 1-line block ×3, first 2 shown]
	v_add_f64 v[48:49], v[48:49], v[112:113]
	v_add_f64 v[130:131], v[130:131], v[56:57]
	v_mul_f64 v[52:53], v[36:37], v[167:168]
	v_mul_f64 v[82:83], v[102:103], v[167:168]
	v_add_f64 v[132:133], v[132:133], v[58:59]
	v_add_f64 v[151:152], v[58:59], -v[64:65]
	v_add_f64 v[153:154], v[66:67], -v[68:69]
	v_mul_f64 v[86:87], v[34:35], v[171:172]
	v_mul_f64 v[171:172], v[100:101], v[171:172]
	v_fma_f64 v[155:156], v[90:91], s[14:15], v[18:19]
	v_fma_f64 v[18:19], v[90:91], s[18:19], v[18:19]
	;; [unrolled: 1-line block ×12, first 2 shown]
	v_add_f64 v[124:125], v[124:125], v[126:127]
	v_add_f64 v[106:107], v[128:129], v[106:107]
	;; [unrolled: 1-line block ×9, first 2 shown]
	v_fma_f64 v[48:49], v[104:105], v[161:162], -v[40:41]
	v_fma_f64 v[145:146], v[122:123], s[8:9], v[155:156]
	v_fma_f64 v[18:19], v[122:123], s[16:17], v[18:19]
	;; [unrolled: 1-line block ×13, first 2 shown]
	v_fma_f64 v[46:47], v[98:99], v[157:158], -v[78:79]
	v_fma_f64 v[40:41], v[38:39], v[161:162], v[50:51]
	v_fma_f64 v[50:51], v[102:103], v[165:166], -v[52:53]
	v_fma_f64 v[38:39], v[36:37], v[165:166], v[82:83]
	v_fma_f64 v[52:53], v[100:101], v[169:170], -v[86:87]
	v_add_f64 v[32:33], v[142:143], v[74:75]
	v_add_f64 v[36:37], v[130:131], v[70:71]
	;; [unrolled: 1-line block ×3, first 2 shown]
	v_mul_u32_u24_sdwa v177, v185, v191 dst_sel:DWORD dst_unused:UNUSED_PAD src0_sel:WORD_0 src1_sel:DWORD
	v_fma_f64 v[86:87], v[124:125], s[6:7], v[145:146]
	v_fma_f64 v[18:19], v[124:125], s[6:7], v[18:19]
	;; [unrolled: 1-line block ×6, first 2 shown]
	v_lshlrev_b32_sdwa v79, v116, v188 dst_sel:DWORD dst_unused:UNUSED_PAD src0_sel:DWORD src1_sel:BYTE_0
	v_fma_f64 v[110:111], v[138:139], s[6:7], v[44:45]
	v_fma_f64 v[44:45], v[34:35], v[169:170], v[171:172]
	;; [unrolled: 1-line block ×7, first 2 shown]
	v_mul_u32_u24_sdwa v34, v186, v191 dst_sel:DWORD dst_unused:UNUSED_PAD src0_sel:WORD_0 src1_sel:DWORD
	v_mul_u32_u24_sdwa v35, v187, v191 dst_sel:DWORD dst_unused:UNUSED_PAD src0_sel:WORD_0 src1_sel:DWORD
	v_lshlrev_b32_sdwa v81, v116, v189 dst_sel:DWORD dst_unused:UNUSED_PAD src0_sel:DWORD src1_sel:BYTE_0
	v_mul_lo_u16 v78, 0x55, v190
	v_add3_u32 v80, 0, v177, v79
	v_add3_u32 v79, 0, v35, v117
	v_add3_u32 v81, 0, v34, v81
	ds_write2_b64 v80, v[32:33], v[86:87] offset1:17
	ds_write2_b64 v80, v[98:99], v[20:21] offset0:34 offset1:51
	ds_write_b64 v80, v[18:19] offset:544
	ds_write2_b64 v81, v[36:37], v[90:91] offset1:17
	ds_write2_b64 v81, v[102:103], v[22:23] offset0:34 offset1:51
	ds_write_b64 v81, v[100:101] offset:544
	;; [unrolled: 3-line block ×3, first 2 shown]
	s_and_saveexec_b32 s1, s0
	s_cbranch_execz .LBB0_19
; %bb.18:
	v_add_f64 v[20:21], v[48:49], v[50:51]
	v_add_f64 v[18:19], v[46:47], v[52:53]
	v_add_f64 v[32:33], v[42:43], -v[44:45]
	v_add_f64 v[34:35], v[96:97], v[46:47]
	v_add_f64 v[22:23], v[40:41], -v[38:39]
	v_add_f64 v[36:37], v[48:49], -v[46:47]
	;; [unrolled: 1-line block ×5, first 2 shown]
	v_fma_f64 v[20:21], v[20:21], -0.5, v[96:97]
	v_fma_f64 v[18:19], v[18:19], -0.5, v[96:97]
	v_add_f64 v[34:35], v[34:35], v[48:49]
	v_add_f64 v[36:37], v[36:37], v[82:83]
	;; [unrolled: 1-line block ×3, first 2 shown]
	v_fma_f64 v[98:99], v[32:33], s[14:15], v[20:21]
	v_fma_f64 v[96:97], v[22:23], s[14:15], v[18:19]
	;; [unrolled: 1-line block ×4, first 2 shown]
	v_add_f64 v[34:35], v[34:35], v[50:51]
	v_fma_f64 v[90:91], v[22:23], s[8:9], v[98:99]
	v_fma_f64 v[86:87], v[32:33], s[16:17], v[96:97]
	;; [unrolled: 1-line block ×4, first 2 shown]
	v_add_f64 v[22:23], v[34:35], v[52:53]
	v_fma_f64 v[34:35], v[82:83], s[6:7], v[90:91]
	v_fma_f64 v[32:33], v[36:37], s[6:7], v[86:87]
	;; [unrolled: 1-line block ×4, first 2 shown]
	v_lshlrev_b32_sdwa v36, v116, v115 dst_sel:DWORD dst_unused:UNUSED_PAD src0_sel:DWORD src1_sel:WORD_0
	v_lshlrev_b32_sdwa v37, v116, v78 dst_sel:DWORD dst_unused:UNUSED_PAD src0_sel:DWORD src1_sel:WORD_0
	v_add3_u32 v36, 0, v36, v37
	ds_write2_b64 v36, v[22:23], v[34:35] offset1:17
	ds_write2_b64 v36, v[18:19], v[32:33] offset0:34 offset1:51
	ds_write_b64 v36, v[20:21] offset:544
.LBB0_19:
	s_or_b32 exec_lo, exec_lo, s1
	v_add_f64 v[18:19], v[54:55], v[6:7]
	v_add_f64 v[20:21], v[76:77], v[0:1]
	;; [unrolled: 1-line block ×8, first 2 shown]
	v_add_f64 v[74:75], v[84:85], -v[74:75]
	v_add_f64 v[90:91], v[24:25], v[72:73]
	v_add_f64 v[84:85], v[112:113], -v[88:89]
	v_add_f64 v[56:57], v[56:57], -v[62:63]
	;; [unrolled: 1-line block ×10, first 2 shown]
	s_waitcnt lgkmcnt(0)
	s_barrier
	v_fma_f64 v[18:19], v[18:19], -0.5, v[30:31]
	v_fma_f64 v[20:21], v[20:21], -0.5, v[30:31]
	v_add_f64 v[30:31], v[60:61], -v[70:71]
	v_fma_f64 v[22:23], v[22:23], -0.5, v[24:25]
	v_fma_f64 v[24:25], v[32:33], -0.5, v[24:25]
	v_add_f64 v[32:33], v[64:65], -v[68:69]
	v_fma_f64 v[34:35], v[34:35], -0.5, v[28:29]
	v_fma_f64 v[28:29], v[36:37], -0.5, v[28:29]
	v_add_f64 v[14:15], v[96:97], v[14:15]
	v_add_f64 v[54:55], v[82:83], v[54:55]
	v_add_f64 v[36:37], v[72:73], -v[12:13]
	v_add_f64 v[12:13], v[90:91], v[12:13]
	v_add_f64 v[60:61], v[2:3], -v[10:11]
	v_add_f64 v[64:65], v[10:11], -v[2:3]
	;; [unrolled: 1-line block ×4, first 2 shown]
	buffer_gl0_inv
	v_add_f64 v[86:87], v[86:87], v[88:89]
	v_add_nc_u32_e32 v88, 0x800, v120
	v_add_f64 v[76:77], v[76:77], v[98:99]
	v_fma_f64 v[72:73], v[74:75], s[18:19], v[18:19]
	v_fma_f64 v[18:19], v[74:75], s[14:15], v[18:19]
	;; [unrolled: 1-line block ×12, first 2 shown]
	v_add_f64 v[8:9], v[14:15], v[8:9]
	v_add_f64 v[6:7], v[54:55], v[6:7]
	;; [unrolled: 1-line block ×7, first 2 shown]
	v_fma_f64 v[12:13], v[84:85], s[16:17], v[72:73]
	v_fma_f64 v[14:15], v[84:85], s[8:9], v[18:19]
	;; [unrolled: 1-line block ×12, first 2 shown]
	v_add_f64 v[68:69], v[8:9], v[4:5]
	v_add_nc_u32_e32 v4, 0xc00, v120
	v_add_nc_u32_e32 v5, 0x1000, v120
	v_add_f64 v[64:65], v[6:7], v[0:1]
	v_add_nc_u32_e32 v6, 0x1800, v120
	v_add_nc_u32_e32 v7, 0x1c00, v120
	ds_read_b64 v[32:33], v118
	v_add_f64 v[66:67], v[10:11], v[2:3]
	v_fma_f64 v[70:71], v[86:87], s[6:7], v[12:13]
	v_fma_f64 v[72:73], v[86:87], s[6:7], v[14:15]
	v_add_nc_u32_e32 v86, 0x2000, v120
	v_fma_f64 v[74:75], v[76:77], s[6:7], v[18:19]
	v_fma_f64 v[76:77], v[76:77], s[6:7], v[20:21]
	;; [unrolled: 1-line block ×10, first 2 shown]
	ds_read_b64 v[34:35], v120 offset:10880
	ds_read_b64 v[24:25], v120
	ds_read_b64 v[30:31], v119
	;; [unrolled: 1-line block ×3, first 2 shown]
	ds_read2_b64 v[0:3], v88 offset0:84 offset1:169
	ds_read2_b64 v[12:15], v4 offset0:126 offset1:211
	;; [unrolled: 1-line block ×6, first 2 shown]
	s_waitcnt lgkmcnt(0)
	s_barrier
	buffer_gl0_inv
	ds_write2_b64 v80, v[64:65], v[70:71] offset1:17
	ds_write2_b64 v80, v[74:75], v[76:77] offset0:34 offset1:51
	ds_write_b64 v80, v[72:73] offset:544
	ds_write2_b64 v81, v[66:67], v[54:55] offset1:17
	ds_write2_b64 v81, v[56:57], v[60:61] offset0:34 offset1:51
	ds_write_b64 v81, v[82:83] offset:544
	;; [unrolled: 3-line block ×3, first 2 shown]
	s_and_saveexec_b32 s1, s0
	s_cbranch_execz .LBB0_21
; %bb.20:
	v_add_f64 v[28:29], v[40:41], v[38:39]
	v_add_f64 v[54:55], v[42:43], v[44:45]
	;; [unrolled: 1-line block ×3, first 2 shown]
	v_add_f64 v[46:47], v[46:47], -v[52:53]
	v_add_f64 v[48:49], v[48:49], -v[50:51]
	s_mov_b32 s6, 0x134454ff
	s_mov_b32 s7, 0xbfee6f0e
	;; [unrolled: 1-line block ×4, first 2 shown]
	v_add_f64 v[50:51], v[42:43], -v[40:41]
	v_add_f64 v[52:53], v[44:45], -v[38:39]
	;; [unrolled: 1-line block ×3, first 2 shown]
	v_fma_f64 v[28:29], v[28:29], -0.5, v[26:27]
	v_fma_f64 v[26:27], v[54:55], -0.5, v[26:27]
	v_add_f64 v[40:41], v[56:57], v[40:41]
	v_add_f64 v[54:55], v[38:39], -v[44:45]
	v_add_f64 v[50:51], v[50:51], v[52:53]
	v_fma_f64 v[56:57], v[46:47], s[6:7], v[28:29]
	v_fma_f64 v[58:59], v[48:49], s[8:9], v[26:27]
	;; [unrolled: 1-line block ×4, first 2 shown]
	s_mov_b32 s6, 0x4755a5e
	s_mov_b32 s7, 0xbfe2cf23
	;; [unrolled: 1-line block ×4, first 2 shown]
	v_add_f64 v[38:39], v[40:41], v[38:39]
	v_add_f64 v[42:43], v[42:43], v[54:55]
	v_fma_f64 v[40:41], v[48:49], s[6:7], v[56:57]
	v_fma_f64 v[52:53], v[46:47], s[6:7], v[58:59]
	;; [unrolled: 1-line block ×4, first 2 shown]
	s_mov_b32 s6, 0x372fe950
	s_mov_b32 s7, 0x3fd3c6ef
	v_add_f64 v[38:39], v[38:39], v[44:45]
	v_fma_f64 v[40:41], v[50:51], s[6:7], v[40:41]
	v_fma_f64 v[44:45], v[42:43], s[6:7], v[52:53]
	;; [unrolled: 1-line block ×4, first 2 shown]
	v_mov_b32_e32 v42, 3
	v_lshlrev_b32_sdwa v43, v42, v115 dst_sel:DWORD dst_unused:UNUSED_PAD src0_sel:DWORD src1_sel:WORD_0
	v_lshlrev_b32_sdwa v42, v42, v78 dst_sel:DWORD dst_unused:UNUSED_PAD src0_sel:DWORD src1_sel:WORD_0
	v_add3_u32 v42, 0, v43, v42
	ds_write2_b64 v42, v[38:39], v[40:41] offset1:17
	ds_write2_b64 v42, v[44:45], v[26:27] offset0:34 offset1:51
	ds_write_b64 v42, v[28:29] offset:544
.LBB0_21:
	s_or_b32 exec_lo, exec_lo, s1
	s_waitcnt lgkmcnt(0)
	s_barrier
	buffer_gl0_inv
	s_and_saveexec_b32 s0, vcc_lo
	s_cbranch_execz .LBB0_23
; %bb.22:
	v_lshlrev_b32_e32 v26, 4, v114
	v_mov_b32_e32 v27, 0
	v_add_nc_u32_e32 v86, 0xc00, v120
	v_add_nc_u32_e32 v88, 0x800, v120
	;; [unrolled: 1-line block ×4, first 2 shown]
	v_lshlrev_b64 v[26:27], 4, v[26:27]
	v_add_nc_u32_e32 v89, 0x1c00, v120
	v_add_nc_u32_e32 v78, 0x1000, v120
	v_mul_lo_u32 v179, s5, v94
	v_mul_lo_u32 v180, s4, v95
	s_mov_b32 s30, 0xacd6c6b4
	v_add_co_u32 v26, vcc_lo, s12, v26
	v_add_co_ci_u32_e32 v27, vcc_lo, s13, v27, vcc_lo
	s_mov_b32 s31, 0x3fc7851a
	s_mov_b32 s39, 0xbfc7851a
	s_clause 0xf
	global_load_dwordx4 v[38:41], v[26:27], off offset:1200
	global_load_dwordx4 v[42:45], v[26:27], off offset:1216
	;; [unrolled: 1-line block ×16, first 2 shown]
	v_mad_u64_u32 v[26:27], null, s4, v94, 0
	ds_read_b64 v[28:29], v120
	ds_read_b64 v[90:91], v119
	;; [unrolled: 1-line block ×4, first 2 shown]
	ds_read_b64 v[120:121], v120 offset:10880
	ds_read2_b64 v[78:81], v78 offset0:168 offset1:253
	ds_read2_b64 v[116:119], v86 offset0:126 offset1:211
	;; [unrolled: 1-line block ×6, first 2 shown]
	s_mov_b32 s38, s30
	s_mov_b32 s0, 0x6ed5f1bb
	s_mov_b32 s12, 0x910ea3b9
	s_mov_b32 s26, 0x4363dd80
	s_mov_b32 s24, 0x370991
	s_mov_b32 s28, 0x5d8e7cdc
	s_mov_b32 s1, 0xbfe348c8
	s_mov_b32 s13, 0xbfeb34fa
	s_mov_b32 s27, 0x3fe0d888
	s_mov_b32 s25, 0x3fedd6d0
	s_mov_b32 s29, 0xbfd71e95
	s_mov_b32 s41, 0xbfe0d888
	s_mov_b32 s49, 0x3fd71e95
	s_mov_b32 s40, s26
	s_mov_b32 s48, s28
	s_mov_b32 s6, 0xc61f0d01
	s_mov_b32 s14, 0x923c349f
	s_mov_b32 s4, 0x2b2883cd
	s_mov_b32 s16, 0x6c9a05f6
	s_mov_b32 s7, 0xbfd183b1
	s_mov_b32 s15, 0x3feec746
	s_mov_b32 s5, 0x3fdc86fa
	s_mov_b32 s17, 0x3fe9895b
	s_mov_b32 s47, 0xbfeec746
	s_mov_b32 s43, 0xbfe9895b
	s_mov_b32 s46, s14
	s_mov_b32 s42, s16
	s_mov_b32 s8, 0x7c9e640b
	s_mov_b32 s9, 0xbfeca52d
	s_mov_b32 s45, 0x3feca52d
	s_mov_b32 s44, s8
	s_mov_b32 s18, 0x3259b75e
	s_mov_b32 s20, 0xeb564b22
	s_mov_b32 s19, 0x3fb79ee6
	s_mov_b32 s21, 0xbfefdd0d
	s_mov_b32 s51, 0x3fefdd0d
	s_mov_b32 s50, s20
	s_mov_b32 s34, 0x75d4884
	s_mov_b32 s35, 0x3fe7a5f6
	v_add3_u32 v27, v27, v180, v179
	s_mov_b32 s36, 0x2a9d6da3
	s_mov_b32 s37, 0xbfe58eea
	;; [unrolled: 1-line block ×4, first 2 shown]
	s_waitcnt vmcnt(15)
	v_mul_f64 v[86:87], v[20:21], v[40:41]
	s_waitcnt vmcnt(14)
	v_mul_f64 v[88:89], v[22:23], v[44:45]
	s_waitcnt lgkmcnt(5)
	v_mul_f64 v[44:45], v[80:81], v[44:45]
	s_waitcnt vmcnt(13)
	v_mul_f64 v[112:113], v[14:15], v[48:49]
	s_waitcnt vmcnt(12)
	v_mul_f64 v[114:115], v[16:17], v[52:53]
	s_waitcnt lgkmcnt(4)
	v_mul_f64 v[48:49], v[118:119], v[48:49]
	v_mul_f64 v[40:41], v[78:79], v[40:41]
	s_waitcnt vmcnt(11)
	v_mul_f64 v[126:127], v[12:13], v[56:57]
	s_waitcnt vmcnt(10)
	v_mul_f64 v[136:137], v[18:19], v[60:61]
	v_mul_f64 v[56:57], v[116:117], v[56:57]
	s_waitcnt lgkmcnt(3)
	v_mul_f64 v[60:61], v[134:135], v[60:61]
	s_waitcnt vmcnt(4)
	v_mul_f64 v[167:168], v[4:5], v[98:99]
	s_waitcnt lgkmcnt(0)
	v_mul_f64 v[98:99], v[149:150], v[98:99]
	s_waitcnt vmcnt(3)
	v_mul_f64 v[169:170], v[30:31], v[106:107]
	v_mul_f64 v[106:107], v[90:91], v[106:107]
	s_waitcnt vmcnt(1)
	v_mul_f64 v[173:174], v[32:33], v[124:125]
	s_waitcnt vmcnt(0)
	v_mul_f64 v[175:176], v[34:35], v[130:131]
	v_mul_f64 v[138:139], v[2:3], v[64:65]
	;; [unrolled: 1-line block ×11, first 2 shown]
	v_fma_f64 v[100:101], v[78:79], v[38:39], v[86:87]
	v_fma_f64 v[86:87], v[80:81], v[42:43], v[88:89]
	v_fma_f64 v[88:89], v[22:23], v[42:43], -v[44:45]
	v_fma_f64 v[78:79], v[132:133], v[50:51], v[114:115]
	v_fma_f64 v[114:115], v[14:15], v[46:47], -v[48:49]
	v_mul_f64 v[155:156], v[8:9], v[68:69]
	v_mul_f64 v[163:164], v[140:141], v[72:73]
	v_fma_f64 v[44:45], v[4:5], v[96:97], -v[98:99]
	v_fma_f64 v[102:103], v[20:21], v[38:39], -v[40:41]
	;; [unrolled: 1-line block ×3, first 2 shown]
	v_fma_f64 v[14:15], v[94:95], v[122:123], v[173:174]
	v_fma_f64 v[30:31], v[120:121], v[128:129], v[175:176]
	;; [unrolled: 1-line block ×3, first 2 shown]
	v_fma_f64 v[130:131], v[12:13], v[54:55], -v[56:57]
	v_fma_f64 v[72:73], v[18:19], v[58:59], -v[60:61]
	v_fma_f64 v[136:137], v[142:143], v[62:63], v[138:139]
	v_fma_f64 v[138:139], v[2:3], v[62:63], -v[64:65]
	v_fma_f64 v[60:61], v[8:9], v[66:67], -v[157:158]
	v_fma_f64 v[2:3], v[140:141], v[70:71], v[159:160]
	v_fma_f64 v[8:9], v[36:37], v[82:83], -v[84:85]
	v_fma_f64 v[12:13], v[90:91], v[104:105], v[169:170]
	v_fma_f64 v[36:37], v[151:152], v[108:109], v[171:172]
	v_fma_f64 v[38:39], v[6:7], v[108:109], -v[110:111]
	v_fma_f64 v[6:7], v[32:33], v[122:123], -v[124:125]
	;; [unrolled: 1-line block ×3, first 2 shown]
	v_mul_f64 v[52:53], v[132:133], v[52:53]
	v_mul_f64 v[161:162], v[10:11], v[76:77]
	;; [unrolled: 1-line block ×3, first 2 shown]
	v_fma_f64 v[42:43], v[149:150], v[96:97], v[167:168]
	v_fma_f64 v[126:127], v[116:117], v[54:55], v[126:127]
	v_fma_f64 v[0:1], v[0:1], v[70:71], -v[163:164]
	v_fma_f64 v[112:113], v[118:119], v[46:47], v[112:113]
	v_fma_f64 v[58:59], v[145:146], v[66:67], v[155:156]
	v_add_f64 v[140:141], v[14:15], v[30:31]
	v_add_f64 v[142:143], v[14:15], -v[30:31]
	v_add_f64 v[14:15], v[28:29], v[14:15]
	v_add_f64 v[54:55], v[130:131], -v[72:73]
	v_add_f64 v[62:63], v[130:131], v[72:73]
	v_add_f64 v[56:57], v[100:101], v[86:87]
	v_add_f64 v[66:67], v[138:139], -v[60:61]
	v_add_f64 v[64:65], v[100:101], -v[86:87]
	;; [unrolled: 1-line block ×3, first 2 shown]
	v_add_f64 v[104:105], v[8:9], v[44:45]
	v_add_f64 v[132:133], v[12:13], v[36:37]
	v_add_f64 v[134:135], v[12:13], -v[36:37]
	v_add_f64 v[108:109], v[4:5], -v[38:39]
	v_add_f64 v[120:121], v[6:7], -v[32:33]
	v_add_f64 v[124:125], v[6:7], v[32:33]
	v_add_f64 v[6:7], v[24:25], v[6:7]
	v_fma_f64 v[80:81], v[16:17], v[50:51], -v[52:53]
	v_fma_f64 v[52:53], v[10:11], v[74:75], -v[76:77]
	v_fma_f64 v[10:11], v[153:154], v[82:83], v[165:166]
	v_add_f64 v[116:117], v[4:5], v[38:39]
	v_fma_f64 v[50:51], v[147:148], v[74:75], v[161:162]
	v_add_f64 v[98:99], v[136:137], v[58:59]
	v_mul_f64 v[151:152], v[140:141], s[22:23]
	v_mul_f64 v[167:168], v[142:143], s[38:39]
	v_mul_f64 v[183:184], v[140:141], s[12:13]
	v_mul_f64 v[199:200], v[142:143], s[40:41]
	v_add_f64 v[12:13], v[12:13], v[14:15]
	v_mul_f64 v[207:208], v[140:141], s[0:1]
	v_mul_f64 v[213:214], v[142:143], s[42:43]
	;; [unrolled: 1-line block ×10, first 2 shown]
	v_add_f64 v[4:5], v[4:5], v[6:7]
	v_mul_f64 v[209:210], v[134:135], s[14:15]
	v_add_f64 v[82:83], v[0:1], -v[52:53]
	v_add_f64 v[122:123], v[10:11], v[42:43]
	v_add_f64 v[128:129], v[10:11], -v[42:43]
	v_add_f64 v[110:111], v[2:3], v[50:51]
	v_add_f64 v[118:119], v[2:3], -v[50:51]
	v_fma_f64 v[211:212], v[120:121], s[30:31], v[151:152]
	v_fma_f64 v[221:222], v[124:125], s[22:23], v[167:168]
	v_fma_f64 v[151:152], v[120:121], s[38:39], v[151:152]
	v_fma_f64 v[167:168], v[124:125], s[22:23], -v[167:168]
	v_add_f64 v[10:11], v[10:11], v[12:13]
	v_fma_f64 v[235:236], v[120:121], s[26:27], v[183:184]
	v_fma_f64 v[239:240], v[124:125], s[12:13], v[199:200]
	;; [unrolled: 1-line block ×4, first 2 shown]
	v_fma_f64 v[199:200], v[124:125], s[12:13], -v[199:200]
	v_add_f64 v[90:91], v[0:1], v[52:53]
	v_fma_f64 v[243:244], v[116:117], s[24:25], v[165:166]
	v_mul_f64 v[215:216], v[132:133], s[12:13]
	v_mul_f64 v[219:220], v[134:135], s[26:27]
	;; [unrolled: 1-line block ×3, first 2 shown]
	v_add_f64 v[4:5], v[8:9], v[4:5]
	v_fma_f64 v[8:9], v[108:109], s[28:29], v[149:150]
	v_fma_f64 v[149:150], v[108:109], s[48:49], v[149:150]
	v_mul_f64 v[241:242], v[142:143], s[8:9]
	v_fma_f64 v[165:166], v[116:117], s[24:25], -v[165:166]
	v_fma_f64 v[245:246], v[108:109], s[8:9], v[181:182]
	v_fma_f64 v[181:182], v[108:109], s[44:45], v[181:182]
	v_add_f64 v[211:212], v[28:29], v[211:212]
	v_add_f64 v[221:222], v[24:25], v[221:222]
	;; [unrolled: 1-line block ×5, first 2 shown]
	v_fma_f64 v[2:3], v[124:125], s[0:1], v[213:214]
	v_add_f64 v[10:11], v[28:29], v[235:236]
	v_fma_f64 v[207:208], v[120:121], s[42:43], v[207:208]
	v_add_f64 v[235:236], v[24:25], v[239:240]
	v_mul_f64 v[12:13], v[140:141], s[4:5]
	v_fma_f64 v[249:250], v[116:117], s[4:5], v[197:198]
	v_fma_f64 v[197:198], v[116:117], s[4:5], -v[197:198]
	v_add_f64 v[199:200], v[24:25], v[199:200]
	v_mul_f64 v[147:148], v[122:123], s[12:13]
	v_mul_f64 v[163:164], v[128:129], s[40:41]
	v_add_f64 v[239:240], v[0:1], v[4:5]
	v_fma_f64 v[0:1], v[108:109], s[46:47], v[205:206]
	v_add_f64 v[4:5], v[28:29], v[183:184]
	v_mul_f64 v[225:226], v[132:133], s[22:23]
	v_mul_f64 v[229:230], v[134:135], s[38:39]
	;; [unrolled: 1-line block ×3, first 2 shown]
	v_fma_f64 v[183:184], v[116:117], s[6:7], v[209:210]
	v_add_f64 v[8:9], v[8:9], v[211:212]
	v_fma_f64 v[211:212], v[124:125], s[0:1], -v[213:214]
	v_add_f64 v[213:214], v[243:244], v[221:222]
	v_fma_f64 v[221:222], v[120:121], s[14:15], v[217:218]
	v_add_f64 v[243:244], v[28:29], v[247:248]
	v_add_f64 v[149:150], v[149:150], v[151:152]
	v_fma_f64 v[151:152], v[124:125], s[6:7], v[223:224]
	v_fma_f64 v[217:218], v[120:121], s[46:47], v[217:218]
	v_fma_f64 v[223:224], v[124:125], s[6:7], -v[223:224]
	v_fma_f64 v[205:206], v[108:109], s[14:15], v[205:206]
	v_add_f64 v[165:166], v[165:166], v[167:168]
	v_fma_f64 v[167:168], v[108:109], s[40:41], v[215:216]
	v_add_f64 v[2:3], v[24:25], v[2:3]
	v_add_f64 v[10:11], v[245:246], v[10:11]
	v_fma_f64 v[245:246], v[120:121], s[50:51], v[227:228]
	v_add_f64 v[207:208], v[28:29], v[207:208]
	v_fma_f64 v[247:248], v[124:125], s[18:19], v[231:232]
	;; [unrolled: 2-line block ×3, first 2 shown]
	v_fma_f64 v[227:228], v[120:121], s[20:21], v[227:228]
	v_fma_f64 v[215:216], v[108:109], s[26:27], v[215:216]
	v_fma_f64 v[219:220], v[116:117], s[12:13], -v[219:220]
	v_mul_f64 v[233:234], v[132:133], s[0:1]
	v_fma_f64 v[209:210], v[116:117], s[6:7], -v[209:210]
	v_fma_f64 v[231:232], v[124:125], s[18:19], -v[231:232]
	v_add_f64 v[221:222], v[28:29], v[221:222]
	v_add_f64 v[0:1], v[0:1], v[243:244]
	v_fma_f64 v[243:244], v[124:125], s[4:5], v[241:242]
	v_add_f64 v[151:152], v[24:25], v[151:152]
	v_add_f64 v[217:218], v[28:29], v[217:218]
	;; [unrolled: 1-line block ×5, first 2 shown]
	v_fma_f64 v[199:200], v[120:121], s[44:45], v[12:13]
	v_mul_f64 v[179:180], v[122:123], s[18:19]
	v_mul_f64 v[203:204], v[122:123], s[24:25]
	v_mul_f64 v[6:7], v[128:129], s[28:29]
	v_add_f64 v[2:3], v[183:184], v[2:3]
	v_fma_f64 v[183:184], v[108:109], s[30:31], v[225:226]
	v_add_f64 v[245:246], v[28:29], v[245:246]
	v_add_f64 v[205:206], v[205:206], v[207:208]
	v_fma_f64 v[207:208], v[116:117], s[22:23], v[229:230]
	v_fma_f64 v[225:226], v[108:109], s[38:39], v[225:226]
	v_add_f64 v[247:248], v[24:25], v[247:248]
	v_add_f64 v[227:228], v[28:29], v[227:228]
	v_mul_f64 v[195:196], v[128:129], s[20:21]
	v_fma_f64 v[229:230], v[116:117], s[22:23], -v[229:230]
	v_add_f64 v[167:168], v[167:168], v[221:222]
	v_fma_f64 v[221:222], v[116:117], s[0:1], v[237:238]
	v_add_f64 v[243:244], v[24:25], v[243:244]
	v_add_f64 v[151:152], v[181:182], v[151:152]
	v_fma_f64 v[181:182], v[96:97], s[26:27], v[147:148]
	v_add_f64 v[215:216], v[215:216], v[217:218]
	v_fma_f64 v[217:218], v[104:105], s[12:13], v[163:164]
	v_add_f64 v[219:220], v[219:220], v[223:224]
	v_mul_f64 v[223:224], v[122:123], s[34:35]
	v_fma_f64 v[147:148], v[96:97], s[40:41], v[147:148]
	v_add_f64 v[231:232], v[24:25], v[231:232]
	v_add_f64 v[209:210], v[209:210], v[211:212]
	v_fma_f64 v[211:212], v[108:109], s[16:17], v[233:234]
	v_add_f64 v[199:200], v[28:29], v[199:200]
	v_mul_f64 v[145:146], v[110:111], s[34:35]
	v_add_f64 v[183:184], v[183:184], v[245:246]
	v_mul_f64 v[245:246], v[128:129], s[52:53]
	v_fma_f64 v[163:164], v[104:105], s[12:13], -v[163:164]
	v_add_f64 v[207:208], v[207:208], v[247:248]
	v_fma_f64 v[247:248], v[96:97], s[50:51], v[179:180]
	v_add_f64 v[225:226], v[225:226], v[227:228]
	v_mul_f64 v[227:228], v[122:123], s[6:7]
	v_fma_f64 v[179:180], v[96:97], s[20:21], v[179:180]
	v_mul_f64 v[161:162], v[118:119], s[52:53]
	v_add_f64 v[221:222], v[221:222], v[243:244]
	v_fma_f64 v[243:244], v[96:97], s[48:49], v[203:204]
	v_add_f64 v[8:9], v[181:182], v[8:9]
	v_fma_f64 v[181:182], v[104:105], s[24:25], v[6:7]
	v_add_f64 v[213:214], v[217:218], v[213:214]
	v_mul_f64 v[217:218], v[122:123], s[22:23]
	v_fma_f64 v[203:204], v[96:97], s[28:29], v[203:204]
	v_fma_f64 v[6:7], v[104:105], s[24:25], -v[6:7]
	v_add_f64 v[147:148], v[147:148], v[149:150]
	v_fma_f64 v[149:150], v[96:97], s[36:37], v[223:224]
	v_add_f64 v[229:230], v[229:230], v[231:232]
	v_fma_f64 v[231:232], v[104:105], s[18:19], v[195:196]
	v_add_f64 v[199:200], v[211:212], v[199:200]
	v_mul_f64 v[211:212], v[128:129], s[14:15]
	v_fma_f64 v[195:196], v[104:105], s[18:19], -v[195:196]
	v_mul_f64 v[177:178], v[110:111], s[0:1]
	v_add_f64 v[235:236], v[249:250], v[235:236]
	v_add_f64 v[163:164], v[163:164], v[165:166]
	v_fma_f64 v[165:166], v[104:105], s[34:35], v[245:246]
	v_fma_f64 v[223:224], v[96:97], s[52:53], v[223:224]
	v_fma_f64 v[245:246], v[104:105], s[34:35], -v[245:246]
	v_add_f64 v[4:5], v[179:180], v[4:5]
	v_fma_f64 v[179:180], v[96:97], s[46:47], v[227:228]
	v_mul_f64 v[193:194], v[118:119], s[16:17]
	v_fma_f64 v[227:228], v[96:97], s[14:15], v[227:228]
	v_add_f64 v[2:3], v[181:182], v[2:3]
	v_mul_f64 v[181:182], v[118:119], s[40:41]
	v_add_f64 v[106:107], v[136:137], -v[58:59]
	v_add_f64 v[203:204], v[203:204], v[205:206]
	v_fma_f64 v[205:206], v[96:97], s[38:39], v[217:218]
	v_add_f64 v[6:7], v[6:7], v[209:210]
	v_fma_f64 v[209:210], v[82:83], s[36:37], v[145:146]
	v_add_f64 v[149:150], v[149:150], v[167:168]
	v_mul_f64 v[167:168], v[110:111], s[4:5]
	v_fma_f64 v[145:146], v[82:83], s[52:53], v[145:146]
	v_mul_f64 v[175:176], v[98:99], s[24:25]
	v_add_f64 v[195:196], v[195:196], v[197:198]
	v_fma_f64 v[197:198], v[104:105], s[6:7], v[211:212]
	v_add_f64 v[10:11], v[247:248], v[10:11]
	v_add_f64 v[231:232], v[231:232], v[235:236]
	v_mul_f64 v[235:236], v[110:111], s[12:13]
	v_fma_f64 v[211:212], v[104:105], s[6:7], -v[211:212]
	v_add_f64 v[151:152], v[165:166], v[151:152]
	v_fma_f64 v[165:166], v[90:91], s[34:35], v[161:162]
	v_add_f64 v[215:216], v[223:224], v[215:216]
	v_mul_f64 v[223:224], v[118:119], s[8:9]
	v_fma_f64 v[161:162], v[90:91], s[34:35], -v[161:162]
	v_add_f64 v[219:220], v[245:246], v[219:220]
	v_fma_f64 v[245:246], v[82:83], s[42:43], v[177:178]
	v_add_f64 v[179:180], v[179:180], v[183:184]
	v_mul_f64 v[183:184], v[110:111], s[24:25]
	v_fma_f64 v[177:178], v[82:83], s[16:17], v[177:178]
	v_add_f64 v[199:200], v[205:206], v[199:200]
	v_fma_f64 v[205:206], v[90:91], s[12:13], v[181:182]
	v_fma_f64 v[181:182], v[90:91], s[12:13], -v[181:182]
	v_fma_f64 v[12:13], v[120:121], s[8:9], v[12:13]
	v_add_f64 v[145:146], v[145:146], v[147:148]
	v_fma_f64 v[147:148], v[82:83], s[44:45], v[167:168]
	v_add_f64 v[225:226], v[227:228], v[225:226]
	v_add_f64 v[197:198], v[197:198], v[207:208]
	v_fma_f64 v[207:208], v[90:91], s[0:1], v[193:194]
	v_mul_f64 v[227:228], v[118:119], s[48:49]
	v_fma_f64 v[193:194], v[90:91], s[0:1], -v[193:194]
	v_add_f64 v[84:85], v[126:127], v[68:69]
	v_add_f64 v[94:95], v[126:127], -v[68:69]
	v_add_f64 v[74:75], v[138:139], v[60:61]
	v_mul_f64 v[22:23], v[98:99], s[0:1]
	v_mul_f64 v[159:160], v[106:107], s[42:43]
	;; [unrolled: 1-line block ×4, first 2 shown]
	v_add_f64 v[0:1], v[243:244], v[0:1]
	v_add_f64 v[211:212], v[211:212], v[229:230]
	v_fma_f64 v[229:230], v[82:83], s[26:27], v[235:236]
	v_fma_f64 v[235:236], v[82:83], s[40:41], v[235:236]
	v_add_f64 v[161:162], v[161:162], v[163:164]
	v_fma_f64 v[163:164], v[90:91], s[4:5], v[223:224]
	v_add_f64 v[10:11], v[245:246], v[10:11]
	v_add_f64 v[4:5], v[177:178], v[4:5]
	v_fma_f64 v[177:178], v[82:83], s[28:29], v[183:184]
	v_add_f64 v[6:7], v[181:182], v[6:7]
	v_mul_f64 v[181:182], v[106:107], s[38:39]
	v_add_f64 v[147:148], v[147:148], v[149:150]
	v_fma_f64 v[149:150], v[66:67], s[48:49], v[175:176]
	v_fma_f64 v[233:234], v[108:109], s[42:43], v[233:234]
	v_add_f64 v[12:13], v[28:29], v[12:13]
	v_mul_f64 v[245:246], v[106:107], s[50:51]
	v_add_f64 v[193:194], v[193:194], v[195:196]
	v_fma_f64 v[195:196], v[90:91], s[24:25], v[227:228]
	v_add_f64 v[76:77], v[112:113], -v[78:79]
	v_mul_f64 v[20:21], v[84:85], s[4:5]
	v_mul_f64 v[157:158], v[94:95], s[44:45]
	;; [unrolled: 1-line block ×3, first 2 shown]
	v_add_f64 v[165:166], v[165:166], v[213:214]
	v_fma_f64 v[223:224], v[90:91], s[4:5], -v[223:224]
	v_add_f64 v[0:1], v[229:230], v[0:1]
	v_fma_f64 v[229:230], v[66:67], s[16:17], v[22:23]
	v_add_f64 v[2:3], v[205:206], v[2:3]
	v_fma_f64 v[205:206], v[74:75], s[0:1], v[159:160]
	v_add_f64 v[203:204], v[235:236], v[203:204]
	v_mul_f64 v[235:236], v[98:99], s[22:23]
	v_fma_f64 v[22:23], v[66:67], s[42:43], v[22:23]
	v_fma_f64 v[159:160], v[74:75], s[0:1], -v[159:160]
	v_add_f64 v[151:152], v[163:164], v[151:152]
	v_fma_f64 v[163:164], v[74:75], s[24:25], v[191:192]
	v_fma_f64 v[175:176], v[66:67], s[28:29], v[175:176]
	v_fma_f64 v[191:192], v[74:75], s[24:25], -v[191:192]
	v_add_f64 v[177:178], v[177:178], v[179:180]
	v_fma_f64 v[179:180], v[66:67], s[20:21], v[247:248]
	v_add_f64 v[10:11], v[149:150], v[10:11]
	v_fma_f64 v[149:150], v[74:75], s[22:23], v[181:182]
	v_add_f64 v[70:71], v[112:113], v[78:79]
	v_add_f64 v[233:234], v[233:234], v[12:13]
	v_mul_f64 v[12:13], v[84:85], s[34:35]
	v_add_f64 v[8:9], v[209:210], v[8:9]
	v_add_f64 v[195:196], v[195:196], v[197:198]
	v_fma_f64 v[197:198], v[74:75], s[18:19], v[245:246]
	v_fma_f64 v[245:246], v[74:75], s[18:19], -v[245:246]
	v_add_f64 v[48:49], v[114:115], v[80:81]
	v_mul_f64 v[155:156], v[76:77], s[46:47]
	v_mul_f64 v[173:174], v[84:85], s[22:23]
	;; [unrolled: 1-line block ×3, first 2 shown]
	v_add_f64 v[219:220], v[223:224], v[219:220]
	v_mul_f64 v[223:224], v[84:85], s[18:19]
	v_add_f64 v[165:166], v[205:206], v[165:166]
	v_fma_f64 v[247:248], v[66:67], s[50:51], v[247:248]
	v_add_f64 v[22:23], v[22:23], v[145:146]
	v_fma_f64 v[145:146], v[66:67], s[30:31], v[235:236]
	v_add_f64 v[159:160], v[159:160], v[161:162]
	v_fma_f64 v[181:182], v[74:75], s[22:23], -v[181:182]
	v_add_f64 v[4:5], v[175:176], v[4:5]
	v_fma_f64 v[175:176], v[54:55], s[8:9], v[20:21]
	v_add_f64 v[191:192], v[191:192], v[193:194]
	v_add_f64 v[0:1], v[179:180], v[0:1]
	v_fma_f64 v[179:180], v[62:63], s[4:5], v[157:158]
	v_fma_f64 v[20:21], v[54:55], s[44:45], v[20:21]
	v_fma_f64 v[157:158], v[62:63], s[4:5], -v[157:158]
	v_add_f64 v[149:150], v[149:150], v[151:152]
	v_fma_f64 v[151:152], v[62:63], s[22:23], -v[189:190]
	v_add_f64 v[46:47], v[114:115], -v[80:81]
	v_mul_f64 v[18:19], v[70:71], s[6:7]
	v_fma_f64 v[167:168], v[82:83], s[8:9], v[167:168]
	v_add_f64 v[8:9], v[229:230], v[8:9]
	v_add_f64 v[6:7], v[245:246], v[6:7]
	v_fma_f64 v[245:246], v[62:63], s[22:23], v[189:190]
	v_fma_f64 v[189:190], v[54:55], s[52:53], v[12:13]
	v_mul_f64 v[171:172], v[70:71], s[34:35]
	v_mul_f64 v[209:210], v[76:77], s[38:39]
	v_add_f64 v[207:208], v[207:208], v[231:232]
	v_mul_f64 v[161:162], v[94:95], s[50:51]
	v_add_f64 v[2:3], v[197:198], v[2:3]
	v_add_f64 v[203:204], v[247:248], v[203:204]
	v_fma_f64 v[247:248], v[54:55], s[30:31], v[173:174]
	v_add_f64 v[145:146], v[145:146], v[147:148]
	v_fma_f64 v[147:148], v[54:55], s[38:39], v[173:174]
	;; [unrolled: 2-line block ×3, first 2 shown]
	v_add_f64 v[165:166], v[179:180], v[165:166]
	v_add_f64 v[20:21], v[20:21], v[22:23]
	;; [unrolled: 1-line block ×3, first 2 shown]
	v_fma_f64 v[157:158], v[54:55], s[20:21], v[223:224]
	v_add_f64 v[151:152], v[151:152], v[191:192]
	v_fma_f64 v[191:192], v[48:49], s[6:7], v[155:156]
	v_mul_f64 v[14:15], v[70:71], s[22:23]
	v_add_f64 v[167:168], v[167:168], v[215:216]
	v_fma_f64 v[235:236], v[66:67], s[38:39], v[235:236]
	v_add_f64 v[8:9], v[175:176], v[8:9]
	v_add_f64 v[0:1], v[189:190], v[0:1]
	v_fma_f64 v[189:190], v[46:47], s[14:15], v[18:19]
	v_mul_f64 v[187:188], v[76:77], s[52:53]
	v_mul_f64 v[215:216], v[70:71], s[24:25]
	;; [unrolled: 1-line block ×3, first 2 shown]
	v_add_f64 v[163:164], v[163:164], v[207:208]
	v_mul_f64 v[197:198], v[98:99], s[4:5]
	v_fma_f64 v[12:13], v[54:55], s[36:37], v[12:13]
	v_add_f64 v[10:11], v[247:248], v[10:11]
	v_fma_f64 v[159:160], v[62:63], s[18:19], v[161:162]
	v_add_f64 v[4:5], v[147:148], v[4:5]
	v_add_f64 v[2:3], v[219:220], v[2:3]
	v_fma_f64 v[18:19], v[46:47], s[46:47], v[18:19]
	v_fma_f64 v[155:156], v[48:49], s[6:7], -v[155:156]
	v_fma_f64 v[223:224], v[54:55], s[50:51], v[223:224]
	v_add_f64 v[145:146], v[157:158], v[145:146]
	v_fma_f64 v[157:158], v[46:47], s[36:37], v[171:172]
	v_fma_f64 v[171:172], v[46:47], s[52:53], v[171:172]
	v_add_f64 v[165:166], v[191:192], v[165:166]
	v_fma_f64 v[191:192], v[48:49], s[22:23], v[209:210]
	v_add_f64 v[167:168], v[235:236], v[167:168]
	v_fma_f64 v[147:148], v[62:63], s[18:19], -v[161:162]
	v_mul_f64 v[161:162], v[128:129], s[30:31]
	v_add_f64 v[8:9], v[189:190], v[8:9]
	v_fma_f64 v[189:190], v[46:47], s[30:31], v[14:15]
	v_add_f64 v[34:35], v[102:103], -v[88:89]
	v_add_f64 v[40:41], v[102:103], v[88:89]
	v_mul_f64 v[16:17], v[56:57], s[18:19]
	v_mul_f64 v[153:154], v[64:65], s[50:51]
	v_mul_f64 v[169:170], v[56:57], s[6:7]
	v_mul_f64 v[185:186], v[64:65], s[46:47]
	v_mul_f64 v[201:202], v[56:57], s[4:5]
	v_mul_f64 v[243:244], v[64:65], s[44:45]
	v_mul_f64 v[231:232], v[56:57], s[0:1]
	v_mul_f64 v[229:230], v[64:65], s[42:43]
	v_mul_f64 v[193:194], v[84:85], s[12:13]
	v_mul_f64 v[175:176], v[106:107], s[8:9]
	v_fma_f64 v[213:214], v[62:63], s[34:35], -v[213:214]
	v_mul_f64 v[235:236], v[110:111], s[6:7]
	v_add_f64 v[163:164], v[245:246], v[163:164]
	v_add_f64 v[12:13], v[12:13], v[203:204]
	;; [unrolled: 1-line block ×3, first 2 shown]
	v_fma_f64 v[159:160], v[48:49], s[34:35], v[187:188]
	v_fma_f64 v[187:188], v[48:49], s[34:35], -v[187:188]
	v_add_f64 v[18:19], v[18:19], v[20:21]
	v_add_f64 v[20:21], v[155:156], v[22:23]
	v_fma_f64 v[14:15], v[46:47], s[38:39], v[14:15]
	v_fma_f64 v[22:23], v[48:49], s[22:23], -v[209:210]
	v_add_f64 v[10:11], v[157:158], v[10:11]
	v_fma_f64 v[157:158], v[46:47], s[48:49], v[215:216]
	v_add_f64 v[4:5], v[171:172], v[4:5]
	v_fma_f64 v[171:172], v[48:49], s[24:25], v[205:206]
	v_fma_f64 v[209:210], v[46:47], s[28:29], v[215:216]
	;; [unrolled: 1-line block ×3, first 2 shown]
	v_fma_f64 v[215:216], v[124:125], s[4:5], -v[241:242]
	v_add_f64 v[2:3], v[191:192], v[2:3]
	v_fma_f64 v[191:192], v[66:67], s[44:45], v[197:198]
	v_mul_f64 v[247:248], v[118:119], s[14:15]
	v_add_f64 v[167:168], v[223:224], v[167:168]
	v_add_f64 v[0:1], v[189:190], v[0:1]
	v_fma_f64 v[189:190], v[104:105], s[22:23], v[161:162]
	v_mul_f64 v[207:208], v[70:71], s[0:1]
	v_mul_f64 v[179:180], v[98:99], s[34:35]
	v_fma_f64 v[203:204], v[34:35], s[20:21], v[16:17]
	v_add_f64 v[6:7], v[213:214], v[6:7]
	v_fma_f64 v[213:214], v[40:41], s[18:19], v[153:154]
	v_fma_f64 v[16:17], v[34:35], s[50:51], v[16:17]
	v_fma_f64 v[153:154], v[40:41], s[18:19], -v[153:154]
	v_fma_f64 v[219:220], v[34:35], s[14:15], v[169:170]
	v_add_f64 v[147:148], v[147:148], v[181:182]
	v_fma_f64 v[181:182], v[40:41], s[6:7], v[185:186]
	v_fma_f64 v[169:170], v[34:35], s[46:47], v[169:170]
	;; [unrolled: 1-line block ×4, first 2 shown]
	v_add_f64 v[159:160], v[159:160], v[163:164]
	v_fma_f64 v[163:164], v[34:35], s[16:17], v[231:232]
	v_add_f64 v[151:152], v[187:188], v[151:152]
	v_fma_f64 v[187:188], v[40:41], s[0:1], v[229:230]
	v_fma_f64 v[205:206], v[48:49], s[24:25], -v[205:206]
	v_add_f64 v[241:242], v[14:15], v[12:13]
	v_fma_f64 v[253:254], v[54:55], s[26:27], v[193:194]
	v_add_f64 v[14:15], v[157:158], v[145:146]
	v_fma_f64 v[157:158], v[74:75], s[4:5], v[175:176]
	v_fma_f64 v[197:198], v[66:67], s[8:9], v[197:198]
	v_add_f64 v[149:150], v[171:172], v[149:150]
	v_fma_f64 v[171:172], v[82:83], s[46:47], v[235:236]
	v_fma_f64 v[217:218], v[96:97], s[30:31], v[217:218]
	v_fma_f64 v[237:238], v[116:117], s[0:1], -v[237:238]
	v_add_f64 v[215:216], v[24:25], v[215:216]
	v_add_f64 v[225:226], v[183:184], v[225:226]
	;; [unrolled: 1-line block ×4, first 2 shown]
	v_mul_f64 v[245:246], v[106:107], s[52:53]
	v_add_f64 v[209:210], v[209:210], v[167:168]
	v_fma_f64 v[167:168], v[90:91], s[6:7], v[247:248]
	v_add_f64 v[221:222], v[189:190], v[221:222]
	v_add_f64 v[136:137], v[136:137], v[251:252]
	v_fma_f64 v[229:230], v[40:41], s[0:1], -v[229:230]
	v_add_f64 v[6:7], v[22:23], v[6:7]
	v_add_f64 v[191:192], v[203:204], v[8:9]
	;; [unrolled: 1-line block ×12, first 2 shown]
	v_mul_f64 v[14:15], v[84:85], s[24:25]
	v_fma_f64 v[153:154], v[66:67], s[36:37], v[179:180]
	v_add_f64 v[155:156], v[171:172], v[199:200]
	v_fma_f64 v[157:158], v[46:47], s[42:43], v[207:208]
	v_fma_f64 v[159:160], v[54:55], s[40:41], v[193:194]
	v_add_f64 v[169:170], v[197:198], v[225:226]
	v_add_f64 v[171:172], v[253:254], v[177:178]
	v_fma_f64 v[187:188], v[82:83], s[14:15], v[235:236]
	v_fma_f64 v[161:162], v[104:105], s[22:23], -v[161:162]
	v_add_f64 v[193:194], v[237:238], v[215:216]
	v_add_f64 v[195:196], v[217:218], v[233:234]
	;; [unrolled: 1-line block ×3, first 2 shown]
	v_fma_f64 v[201:202], v[34:35], s[44:45], v[201:202]
	v_add_f64 v[189:190], v[213:214], v[165:166]
	v_mul_f64 v[163:164], v[94:95], s[28:29]
	v_fma_f64 v[165:166], v[74:75], s[34:35], v[245:246]
	v_add_f64 v[167:168], v[167:168], v[221:222]
	v_add_f64 v[126:127], v[126:127], v[136:137]
	;; [unrolled: 1-line block ×3, first 2 shown]
	v_fma_f64 v[199:200], v[46:47], s[16:17], v[207:208]
	v_mul_f64 v[205:206], v[140:141], s[34:35]
	v_mul_f64 v[136:137], v[142:143], s[36:37]
	v_fma_f64 v[197:198], v[54:55], s[48:49], v[14:15]
	v_mul_f64 v[140:141], v[140:141], s[24:25]
	v_add_f64 v[153:154], v[153:154], v[155:156]
	v_fma_f64 v[14:15], v[54:55], s[28:29], v[14:15]
	v_mul_f64 v[142:143], v[142:143], s[28:29]
	v_add_f64 v[159:160], v[159:160], v[169:170]
	v_add_f64 v[157:158], v[157:158], v[171:172]
	v_fma_f64 v[171:172], v[66:67], s[52:53], v[179:180]
	v_fma_f64 v[179:180], v[90:91], s[6:7], -v[247:248]
	v_add_f64 v[161:162], v[161:162], v[193:194]
	v_add_f64 v[187:188], v[187:188], v[195:196]
	;; [unrolled: 1-line block ×4, first 2 shown]
	v_mul_f64 v[201:202], v[76:77], s[20:21]
	v_fma_f64 v[203:204], v[62:63], s[24:25], v[163:164]
	v_fma_f64 v[195:196], v[74:75], s[34:35], -v[245:246]
	v_add_f64 v[165:166], v[165:166], v[167:168]
	v_add_f64 v[112:113], v[112:113], v[126:127]
	v_mul_f64 v[126:127], v[134:135], s[20:21]
	v_mul_f64 v[134:135], v[134:135], s[36:37]
	v_fma_f64 v[163:164], v[62:63], s[24:25], -v[163:164]
	v_fma_f64 v[130:131], v[124:125], s[34:35], v[136:137]
	v_fma_f64 v[136:137], v[124:125], s[34:35], -v[136:137]
	v_mul_f64 v[207:208], v[110:111], s[22:23]
	v_add_f64 v[153:154], v[197:198], v[153:154]
	v_mul_f64 v[197:198], v[132:133], s[18:19]
	v_mul_f64 v[132:133], v[132:133], s[34:35]
	v_add_f64 v[159:160], v[199:200], v[159:160]
	v_fma_f64 v[199:200], v[120:121], s[52:53], v[205:206]
	v_mul_f64 v[173:174], v[94:95], s[40:41]
	v_fma_f64 v[227:228], v[90:91], s[24:25], -v[227:228]
	v_add_f64 v[161:162], v[179:180], v[161:162]
	v_add_f64 v[171:172], v[171:172], v[187:188]
	v_fma_f64 v[179:180], v[120:121], s[36:37], v[205:206]
	v_add_f64 v[102:103], v[102:103], v[114:115]
	v_fma_f64 v[193:194], v[48:49], s[18:19], v[201:202]
	v_fma_f64 v[187:188], v[120:121], s[48:49], v[140:141]
	;; [unrolled: 1-line block ×3, first 2 shown]
	v_add_f64 v[165:166], v[203:204], v[165:166]
	v_add_f64 v[100:101], v[100:101], v[112:113]
	v_mul_f64 v[203:204], v[122:123], s[0:1]
	v_fma_f64 v[112:113], v[116:117], s[18:19], v[126:127]
	v_fma_f64 v[126:127], v[116:117], s[18:19], -v[126:127]
	v_add_f64 v[114:115], v[24:25], v[130:131]
	v_add_f64 v[136:137], v[24:25], v[136:137]
	v_mul_f64 v[122:123], v[122:123], s[4:5]
	v_mul_f64 v[110:111], v[110:111], s[18:19]
	v_fma_f64 v[205:206], v[108:109], s[50:51], v[197:198]
	v_fma_f64 v[130:131], v[108:109], s[20:21], v[197:198]
	;; [unrolled: 1-line block ×3, first 2 shown]
	v_add_f64 v[199:200], v[28:29], v[199:200]
	v_fma_f64 v[116:117], v[116:117], s[34:35], -v[134:135]
	v_mul_f64 v[249:250], v[76:77], s[16:17]
	v_add_f64 v[161:162], v[195:196], v[161:162]
	v_add_f64 v[14:15], v[14:15], v[171:172]
	v_mul_f64 v[171:172], v[128:129], s[42:43]
	v_add_f64 v[179:180], v[28:29], v[179:180]
	v_add_f64 v[88:89], v[88:89], v[102:103]
	v_fma_f64 v[195:196], v[108:109], s[52:53], v[132:133]
	v_add_f64 v[187:188], v[28:29], v[187:188]
	v_add_f64 v[165:166], v[193:194], v[165:166]
	v_fma_f64 v[193:194], v[124:125], s[24:25], v[142:143]
	v_fma_f64 v[124:125], v[124:125], s[24:25], -v[142:143]
	v_add_f64 v[86:87], v[86:87], v[100:101]
	v_fma_f64 v[140:141], v[96:97], s[16:17], v[203:204]
	v_mul_f64 v[142:143], v[118:119], s[38:39]
	v_add_f64 v[102:103], v[112:113], v[114:115]
	v_fma_f64 v[112:113], v[96:97], s[42:43], v[203:204]
	v_add_f64 v[126:127], v[126:127], v[136:137]
	v_fma_f64 v[108:109], v[108:109], s[36:37], v[132:133]
	v_add_f64 v[28:29], v[28:29], v[120:121]
	v_mul_f64 v[128:129], v[128:129], s[8:9]
	v_add_f64 v[199:200], v[205:206], v[199:200]
	v_fma_f64 v[136:137], v[96:97], s[44:45], v[122:123]
	v_fma_f64 v[120:121], v[82:83], s[30:31], v[207:208]
	v_add_f64 v[161:162], v[163:164], v[161:162]
	v_fma_f64 v[185:186], v[40:41], s[6:7], -v[185:186]
	v_fma_f64 v[100:101], v[104:105], s[0:1], v[171:172]
	v_add_f64 v[114:115], v[130:131], v[179:180]
	v_fma_f64 v[130:131], v[104:105], s[0:1], -v[171:172]
	v_add_f64 v[80:81], v[80:81], v[88:89]
	v_add_f64 v[163:164], v[195:196], v[187:188]
	v_mul_f64 v[187:188], v[98:99], s[12:13]
	v_add_f64 v[193:194], v[24:25], v[193:194]
	v_add_f64 v[24:25], v[24:25], v[124:125]
	;; [unrolled: 1-line block ×3, first 2 shown]
	v_mul_f64 v[124:125], v[106:107], s[26:27]
	v_fma_f64 v[86:87], v[90:91], s[22:23], v[142:143]
	v_fma_f64 v[12:13], v[62:63], s[12:13], v[173:174]
	v_fma_f64 v[175:176], v[74:75], s[4:5], -v[175:176]
	v_add_f64 v[211:212], v[227:228], v[211:212]
	v_fma_f64 v[96:97], v[96:97], s[8:9], v[122:123]
	v_add_f64 v[28:29], v[108:109], v[28:29]
	v_mul_f64 v[118:119], v[118:119], s[20:21]
	v_add_f64 v[132:133], v[140:141], v[199:200]
	v_fma_f64 v[171:172], v[104:105], s[4:5], v[128:129]
	v_fma_f64 v[104:105], v[104:105], s[4:5], -v[128:129]
	v_mul_f64 v[98:99], v[98:99], s[6:7]
	v_mul_f64 v[140:141], v[84:85], s[6:7]
	v_add_f64 v[88:89], v[100:101], v[102:103]
	v_fma_f64 v[100:101], v[82:83], s[38:39], v[207:208]
	v_add_f64 v[102:103], v[112:113], v[114:115]
	v_fma_f64 v[112:113], v[90:91], s[22:23], -v[142:143]
	v_add_f64 v[114:115], v[130:131], v[126:127]
	v_add_f64 v[72:73], v[72:73], v[80:81]
	v_fma_f64 v[126:127], v[82:83], s[50:51], v[110:111]
	v_add_f64 v[24:25], v[116:117], v[24:25]
	v_add_f64 v[68:69], v[68:69], v[78:79]
	;; [unrolled: 1-line block ×3, first 2 shown]
	v_fma_f64 v[108:109], v[66:67], s[40:41], v[187:188]
	v_mul_f64 v[116:117], v[94:95], s[14:15]
	v_fma_f64 v[78:79], v[74:75], s[12:13], v[124:125]
	v_add_f64 v[20:21], v[185:186], v[151:152]
	v_fma_f64 v[185:186], v[48:49], s[0:1], v[249:250]
	v_fma_f64 v[173:174], v[62:63], s[12:13], -v[173:174]
	v_add_f64 v[175:176], v[175:176], v[211:212]
	v_add_f64 v[120:121], v[120:121], v[132:133]
	;; [unrolled: 1-line block ×3, first 2 shown]
	v_mul_f64 v[12:13], v[70:71], s[18:19]
	v_fma_f64 v[82:83], v[82:83], s[20:21], v[110:111]
	v_add_f64 v[28:29], v[96:97], v[28:29]
	v_add_f64 v[80:81], v[86:87], v[88:89]
	v_fma_f64 v[86:87], v[66:67], s[26:27], v[187:188]
	v_add_f64 v[88:89], v[100:101], v[102:103]
	v_fma_f64 v[100:101], v[74:75], s[12:13], -v[124:125]
	v_add_f64 v[102:103], v[112:113], v[114:115]
	v_add_f64 v[60:61], v[60:61], v[72:73]
	v_fma_f64 v[243:244], v[40:41], s[4:5], -v[243:244]
	v_mul_f64 v[106:107], v[106:107], s[46:47]
	v_fma_f64 v[134:135], v[90:91], s[18:19], v[118:119]
	v_fma_f64 v[90:91], v[90:91], s[18:19], -v[118:119]
	v_add_f64 v[24:25], v[104:105], v[24:25]
	v_add_f64 v[58:59], v[58:59], v[68:69]
	v_mul_f64 v[84:85], v[84:85], s[0:1]
	v_fma_f64 v[112:113], v[66:67], s[14:15], v[98:99]
	v_add_f64 v[114:115], v[126:127], v[130:131]
	v_mul_f64 v[126:127], v[70:71], s[4:5]
	v_fma_f64 v[96:97], v[54:55], s[46:47], v[140:141]
	v_add_f64 v[108:109], v[108:109], v[120:121]
	v_fma_f64 v[68:69], v[62:63], s[6:7], v[116:117]
	v_add_f64 v[173:174], v[173:174], v[175:176]
	v_add_f64 v[4:5], v[185:186], v[4:5]
	v_fma_f64 v[175:176], v[46:47], s[50:51], v[12:13]
	v_add_f64 v[72:73], v[78:79], v[80:81]
	v_fma_f64 v[78:79], v[54:55], s[14:15], v[140:141]
	v_add_f64 v[80:81], v[86:87], v[88:89]
	v_mul_f64 v[185:186], v[64:65], s[40:41]
	v_fma_f64 v[12:13], v[46:47], s[20:21], v[12:13]
	v_fma_f64 v[201:202], v[48:49], s[18:19], -v[201:202]
	v_fma_f64 v[86:87], v[62:63], s[6:7], -v[116:117]
	v_add_f64 v[88:89], v[100:101], v[102:103]
	v_fma_f64 v[66:67], v[66:67], s[46:47], v[98:99]
	v_add_f64 v[28:29], v[82:83], v[28:29]
	v_add_f64 v[52:53], v[52:53], v[60:61]
	;; [unrolled: 1-line block ×3, first 2 shown]
	v_mul_f64 v[6:7], v[56:57], s[34:35]
	v_mul_f64 v[177:178], v[64:65], s[52:53]
	;; [unrolled: 1-line block ×3, first 2 shown]
	v_fma_f64 v[122:123], v[74:75], s[6:7], v[106:107]
	v_fma_f64 v[74:75], v[74:75], s[6:7], -v[106:107]
	v_add_f64 v[24:25], v[90:91], v[24:25]
	v_add_f64 v[50:51], v[50:51], v[58:59]
	v_mul_f64 v[138:139], v[56:57], s[12:13]
	v_fma_f64 v[100:101], v[54:55], s[16:17], v[84:85]
	v_add_f64 v[102:103], v[112:113], v[114:115]
	v_mul_f64 v[104:105], v[76:77], s[44:45]
	v_mul_f64 v[114:115], v[56:57], s[24:25]
	v_fma_f64 v[82:83], v[46:47], s[8:9], v[126:127]
	v_add_f64 v[96:97], v[96:97], v[108:109]
	v_add_f64 v[60:61], v[68:69], v[72:73]
	v_fma_f64 v[68:69], v[46:47], s[44:45], v[126:127]
	v_add_f64 v[72:73], v[78:79], v[80:81]
	v_mul_f64 v[70:71], v[70:71], s[12:13]
	v_add_f64 v[80:81], v[86:87], v[88:89]
	v_mul_f64 v[86:87], v[56:57], s[22:23]
	v_fma_f64 v[54:55], v[54:55], s[42:43], v[84:85]
	v_add_f64 v[28:29], v[66:67], v[28:29]
	v_add_f64 v[12:13], v[12:13], v[14:15]
	v_fma_f64 v[14:15], v[40:41], s[12:13], -v[185:186]
	v_add_f64 v[66:67], v[201:202], v[161:162]
	v_add_f64 v[52:53], v[44:45], v[52:53]
	v_fma_f64 v[155:156], v[34:35], s[36:37], v[6:7]
	v_fma_f64 v[167:168], v[40:41], s[34:35], v[177:178]
	;; [unrolled: 1-line block ×3, first 2 shown]
	v_mul_f64 v[76:77], v[76:77], s[40:41]
	v_fma_f64 v[110:111], v[62:63], s[0:1], v[94:95]
	v_fma_f64 v[62:63], v[62:63], s[0:1], -v[94:95]
	v_add_f64 v[24:25], v[74:75], v[24:25]
	v_add_f64 v[74:75], v[42:43], v[50:51]
	;; [unrolled: 1-line block ×3, first 2 shown]
	v_fma_f64 v[102:103], v[34:35], s[40:41], v[138:139]
	v_mul_f64 v[90:91], v[64:65], s[48:49]
	v_fma_f64 v[58:59], v[48:49], s[4:5], v[104:105]
	v_fma_f64 v[78:79], v[48:49], s[4:5], -v[104:105]
	v_add_f64 v[82:83], v[82:83], v[96:97]
	v_fma_f64 v[96:97], v[34:35], s[48:49], v[114:115]
	v_add_f64 v[68:69], v[68:69], v[72:73]
	v_fma_f64 v[169:170], v[48:49], s[0:1], -v[249:250]
	v_fma_f64 v[56:57], v[46:47], s[26:27], v[70:71]
	v_fma_f64 v[46:47], v[46:47], s[40:41], v[70:71]
	v_add_f64 v[28:29], v[54:55], v[28:29]
	v_mul_f64 v[98:99], v[64:65], s[38:39]
	v_add_f64 v[70:71], v[38:39], v[52:53]
	v_add_f64 v[52:53], v[14:15], v[66:67]
	v_fma_f64 v[14:15], v[34:35], s[38:39], v[86:87]
	v_add_f64 v[42:43], v[167:168], v[4:5]
	v_add_f64 v[50:51], v[6:7], v[159:160]
	v_fma_f64 v[4:5], v[48:49], s[12:13], -v[76:77]
	v_fma_f64 v[231:232], v[34:35], s[42:43], v[231:232]
	v_add_f64 v[6:7], v[62:63], v[24:25]
	v_add_f64 v[24:25], v[36:37], v[74:75]
	v_fma_f64 v[84:85], v[34:35], s[28:29], v[114:115]
	v_add_f64 v[54:55], v[102:103], v[12:13]
	v_mad_u64_u32 v[12:13], null, s2, v144, 0
	v_fma_f64 v[94:95], v[40:41], s[24:25], v[90:91]
	v_add_f64 v[60:61], v[58:59], v[60:61]
	v_fma_f64 v[72:73], v[40:41], s[24:25], -v[90:91]
	v_add_f64 v[78:79], v[78:79], v[80:81]
	v_add_f64 v[62:63], v[96:97], v[68:69]
	v_add_nc_u32_e32 v68, 0x55, v144
	v_add_f64 v[169:170], v[169:170], v[173:174]
	v_fma_f64 v[173:174], v[34:35], s[26:27], v[138:139]
	v_fma_f64 v[80:81], v[34:35], s[30:31], v[86:87]
	v_add_f64 v[34:35], v[46:47], v[28:29]
	v_add_f64 v[28:29], v[32:33], v[70:71]
	v_mad_u64_u32 v[46:47], null, s3, v144, v[13:14]
	v_mad_u64_u32 v[32:33], null, s2, v68, 0
	v_fma_f64 v[177:178], v[40:41], s[34:35], -v[177:178]
	v_add_f64 v[4:5], v[4:5], v[6:7]
	v_lshlrev_b64 v[6:7], 4, v[26:27]
	v_add_f64 v[30:31], v[30:31], v[24:25]
	v_add_nc_u32_e32 v26, 0xaa, v144
	v_add_f64 v[153:154], v[175:176], v[153:154]
	v_fma_f64 v[175:176], v[40:41], s[12:13], v[185:186]
	v_fma_f64 v[90:91], v[40:41], s[22:23], v[98:99]
	v_fma_f64 v[40:41], v[40:41], s[22:23], -v[98:99]
	v_mov_b32_e32 v13, v46
	v_lshlrev_b64 v[24:25], 4, v[92:93]
	v_add_co_u32 v27, vcc_lo, s10, v6
	v_mad_u64_u32 v[46:47], null, s2, v26, 0
	v_add_co_ci_u32_e32 v7, vcc_lo, s11, v7, vcc_lo
	v_mov_b32_e32 v6, v33
	v_lshlrev_b64 v[12:13], 4, v[12:13]
	v_add_co_u32 v71, vcc_lo, v27, v24
	v_add_f64 v[88:89], v[56:57], v[88:89]
	v_add_f64 v[56:57], v[94:95], v[60:61]
	v_add_f64 v[60:61], v[72:73], v[78:79]
	v_add_co_ci_u32_e32 v72, vcc_lo, v7, v25, vcc_lo
	v_mad_u64_u32 v[6:7], null, s3, v68, v[6:7]
	v_mov_b32_e32 v7, v47
	v_add_nc_u32_e32 v73, 0xff, v144
	v_add_co_u32 v12, vcc_lo, v71, v12
	v_add_co_ci_u32_e32 v13, vcc_lo, v72, v13, vcc_lo
	v_mad_u64_u32 v[68:69], null, s3, v26, v[7:8]
	v_mad_u64_u32 v[69:70], null, s2, v73, 0
	v_add_f64 v[179:180], v[197:198], v[193:194]
	global_store_dwordx4 v[12:13], v[28:31], off
	v_add_nc_u32_e32 v30, 0x154, v144
	v_mov_b32_e32 v33, v6
	v_add_f64 v[26:27], v[14:15], v[34:35]
	v_add_f64 v[24:25], v[40:41], v[4:5]
	v_mov_b32_e32 v6, v70
	v_mad_u64_u32 v[12:13], null, s2, v30, 0
	v_lshlrev_b64 v[4:5], 4, v[32:33]
	v_mov_b32_e32 v47, v68
	v_add_nc_u32_e32 v32, 0x1a9, v144
	v_mad_u64_u32 v[6:7], null, s3, v73, v[6:7]
	v_add_nc_u32_e32 v33, 0x1fe, v144
	v_mov_b32_e32 v7, v13
	v_lshlrev_b64 v[14:15], 4, v[46:47]
	v_mad_u64_u32 v[28:29], null, s2, v32, 0
	v_add_co_u32 v4, vcc_lo, v71, v4
	v_mov_b32_e32 v70, v6
	v_mad_u64_u32 v[6:7], null, s3, v30, v[7:8]
	v_mad_u64_u32 v[30:31], null, s2, v33, 0
	v_add_co_ci_u32_e32 v5, vcc_lo, v72, v5, vcc_lo
	v_add_co_u32 v13, vcc_lo, v71, v14
	v_add_f64 v[136:137], v[171:172], v[179:180]
	v_add_co_ci_u32_e32 v14, vcc_lo, v72, v15, vcc_lo
	v_mov_b32_e32 v7, v29
	v_fma_f64 v[64:65], v[48:49], s[12:13], v[76:77]
	v_add_f64 v[48:49], v[177:178], v[169:170]
	global_store_dwordx4 v[4:5], v[24:27], off
	global_store_dwordx4 v[13:14], v[60:63], off
	v_mov_b32_e32 v13, v6
	v_mov_b32_e32 v6, v31
	v_lshlrev_b64 v[4:5], 4, v[69:70]
	v_mad_u64_u32 v[14:15], null, s3, v32, v[7:8]
	v_lshlrev_b64 v[12:13], 4, v[12:13]
	v_mad_u64_u32 v[6:7], null, s3, v33, v[6:7]
	v_add_nc_u32_e32 v7, 0x253, v144
	v_add_co_u32 v4, vcc_lo, v71, v4
	v_add_co_ci_u32_e32 v5, vcc_lo, v72, v5, vcc_lo
	v_mov_b32_e32 v29, v14
	v_mad_u64_u32 v[14:15], null, s2, v7, 0
	v_add_f64 v[151:152], v[231:232], v[209:210]
	v_add_co_u32 v12, vcc_lo, v71, v12
	global_store_dwordx4 v[4:5], v[52:55], off
	v_lshlrev_b64 v[4:5], 4, v[28:29]
	v_add_nc_u32_e32 v28, 0x2a8, v144
	v_add_co_ci_u32_e32 v13, vcc_lo, v72, v13, vcc_lo
	v_mov_b32_e32 v31, v6
	v_add_f64 v[124:125], v[134:135], v[136:137]
	v_mov_b32_e32 v6, v15
	v_mad_u64_u32 v[24:25], null, s2, v28, 0
	global_store_dwordx4 v[12:13], v[48:51], off
	v_lshlrev_b64 v[12:13], 4, v[30:31]
	v_add_nc_u32_e32 v30, 0x2fd, v144
	v_mad_u64_u32 v[6:7], null, s3, v7, v[6:7]
	v_add_co_u32 v4, vcc_lo, v71, v4
	v_mad_u64_u32 v[26:27], null, s2, v30, 0
	v_mov_b32_e32 v7, v25
	v_add_nc_u32_e32 v31, 0x352, v144
	v_add_co_ci_u32_e32 v5, vcc_lo, v72, v5, vcc_lo
	v_mov_b32_e32 v15, v6
	v_mad_u64_u32 v[28:29], null, s3, v28, v[7:8]
	v_mad_u64_u32 v[6:7], null, s2, v31, 0
	global_store_dwordx4 v[4:5], v[149:152], off
	v_mov_b32_e32 v4, v27
	v_add_co_u32 v12, vcc_lo, v71, v12
	v_add_co_ci_u32_e32 v13, vcc_lo, v72, v13, vcc_lo
	v_add_f64 v[112:113], v[122:123], v[124:125]
	v_mad_u64_u32 v[4:5], null, s3, v30, v[4:5]
	v_mov_b32_e32 v25, v28
	v_mov_b32_e32 v5, v7
	global_store_dwordx4 v[12:13], v[145:148], off
	v_lshlrev_b64 v[12:13], 4, v[14:15]
	v_add_nc_u32_e32 v30, 0x3a7, v144
	v_lshlrev_b64 v[14:15], 4, v[24:25]
	v_mad_u64_u32 v[24:25], null, s3, v31, v[5:6]
	v_add_f64 v[10:11], v[219:220], v[10:11]
	v_add_co_u32 v12, vcc_lo, v71, v12
	v_mad_u64_u32 v[28:29], null, s2, v30, 0
	v_add_co_ci_u32_e32 v13, vcc_lo, v72, v13, vcc_lo
	v_mov_b32_e32 v27, v4
	v_add_co_u32 v4, vcc_lo, v71, v14
	v_add_co_ci_u32_e32 v5, vcc_lo, v72, v15, vcc_lo
	v_mov_b32_e32 v7, v24
	global_store_dwordx4 v[12:13], v[20:23], off
	v_lshlrev_b64 v[13:14], 4, v[26:27]
	v_mov_b32_e32 v12, v29
	global_store_dwordx4 v[4:5], v[16:19], off
	v_lshlrev_b64 v[4:5], 4, v[6:7]
	v_add_f64 v[100:101], v[110:111], v[112:113]
	v_add_nc_u32_e32 v15, 0x451, v144
	v_mad_u64_u32 v[6:7], null, s3, v30, v[12:13]
	v_add_co_u32 v12, vcc_lo, v71, v13
	v_add_co_ci_u32_e32 v13, vcc_lo, v72, v14, vcc_lo
	v_add_co_u32 v4, vcc_lo, v71, v4
	v_add_nc_u32_e32 v14, 0x3fc, v144
	v_add_co_ci_u32_e32 v5, vcc_lo, v72, v5, vcc_lo
	v_add_nc_u32_e32 v16, 0x4a6, v144
	v_mov_b32_e32 v29, v6
	v_mad_u64_u32 v[6:7], null, s2, v14, 0
	global_store_dwordx4 v[12:13], v[189:192], off
	global_store_dwordx4 v[4:5], v[8:11], off
	v_mad_u64_u32 v[8:9], null, s2, v15, 0
	v_mad_u64_u32 v[10:11], null, s2, v16, 0
	v_lshlrev_b64 v[4:5], 4, v[28:29]
	v_add_nc_u32_e32 v19, 0x4fb, v144
	v_add_f64 v[64:65], v[64:65], v[100:101]
	v_add_nc_u32_e32 v20, 0x550, v144
	v_mad_u64_u32 v[12:13], null, s3, v14, v[7:8]
	v_mov_b32_e32 v7, v11
	v_mad_u64_u32 v[13:14], null, s3, v15, v[9:10]
	v_add_co_u32 v4, vcc_lo, v71, v4
	v_mad_u64_u32 v[14:15], null, s2, v19, 0
	v_add_co_ci_u32_e32 v5, vcc_lo, v72, v5, vcc_lo
	v_mad_u64_u32 v[16:17], null, s3, v16, v[7:8]
	v_mov_b32_e32 v7, v12
	global_store_dwordx4 v[4:5], v[181:184], off
	v_mad_u64_u32 v[17:18], null, s2, v20, 0
	v_mov_b32_e32 v4, v15
	v_lshlrev_b64 v[5:6], 4, v[6:7]
	v_mov_b32_e32 v9, v13
	v_add_f64 v[44:45], v[155:156], v[157:158]
	v_add_f64 v[38:39], v[173:174], v[153:154]
	;; [unrolled: 1-line block ×3, first 2 shown]
	v_mov_b32_e32 v11, v16
	v_mad_u64_u32 v[12:13], null, s3, v19, v[4:5]
	v_mov_b32_e32 v4, v18
	v_add_co_u32 v5, vcc_lo, v71, v5
	v_add_f64 v[58:59], v[84:85], v[82:83]
	v_add_f64 v[66:67], v[80:81], v[88:89]
	;; [unrolled: 1-line block ×3, first 2 shown]
	v_lshlrev_b64 v[7:8], 4, v[8:9]
	v_mad_u64_u32 v[18:19], null, s3, v20, v[4:5]
	v_mov_b32_e32 v15, v12
	v_lshlrev_b64 v[9:10], 4, v[10:11]
	v_add_co_ci_u32_e32 v6, vcc_lo, v72, v6, vcc_lo
	v_add_co_u32 v7, vcc_lo, v71, v7
	v_lshlrev_b64 v[11:12], 4, v[14:15]
	v_add_co_ci_u32_e32 v8, vcc_lo, v72, v8, vcc_lo
	v_add_co_u32 v9, vcc_lo, v71, v9
	;; [unrolled: 3-line block ×3, first 2 shown]
	v_add_co_ci_u32_e32 v12, vcc_lo, v72, v12, vcc_lo
	v_add_co_u32 v13, vcc_lo, v71, v13
	v_add_co_ci_u32_e32 v14, vcc_lo, v72, v14, vcc_lo
	global_store_dwordx4 v[5:6], v[0:3], off
	global_store_dwordx4 v[7:8], v[42:45], off
	;; [unrolled: 1-line block ×5, first 2 shown]
.LBB0_23:
	s_endpgm
	.section	.rodata,"a",@progbits
	.p2align	6, 0x0
	.amdhsa_kernel fft_rtc_fwd_len1445_factors_17_5_17_wgs_85_tpt_85_halfLds_dp_op_CI_CI_sbrr_dirReg
		.amdhsa_group_segment_fixed_size 0
		.amdhsa_private_segment_fixed_size 0
		.amdhsa_kernarg_size 104
		.amdhsa_user_sgpr_count 6
		.amdhsa_user_sgpr_private_segment_buffer 1
		.amdhsa_user_sgpr_dispatch_ptr 0
		.amdhsa_user_sgpr_queue_ptr 0
		.amdhsa_user_sgpr_kernarg_segment_ptr 1
		.amdhsa_user_sgpr_dispatch_id 0
		.amdhsa_user_sgpr_flat_scratch_init 0
		.amdhsa_user_sgpr_private_segment_size 0
		.amdhsa_wavefront_size32 1
		.amdhsa_uses_dynamic_stack 0
		.amdhsa_system_sgpr_private_segment_wavefront_offset 0
		.amdhsa_system_sgpr_workgroup_id_x 1
		.amdhsa_system_sgpr_workgroup_id_y 0
		.amdhsa_system_sgpr_workgroup_id_z 0
		.amdhsa_system_sgpr_workgroup_info 0
		.amdhsa_system_vgpr_workitem_id 0
		.amdhsa_next_free_vgpr 255
		.amdhsa_next_free_sgpr 60
		.amdhsa_reserve_vcc 1
		.amdhsa_reserve_flat_scratch 0
		.amdhsa_float_round_mode_32 0
		.amdhsa_float_round_mode_16_64 0
		.amdhsa_float_denorm_mode_32 3
		.amdhsa_float_denorm_mode_16_64 3
		.amdhsa_dx10_clamp 1
		.amdhsa_ieee_mode 1
		.amdhsa_fp16_overflow 0
		.amdhsa_workgroup_processor_mode 1
		.amdhsa_memory_ordered 1
		.amdhsa_forward_progress 0
		.amdhsa_shared_vgpr_count 0
		.amdhsa_exception_fp_ieee_invalid_op 0
		.amdhsa_exception_fp_denorm_src 0
		.amdhsa_exception_fp_ieee_div_zero 0
		.amdhsa_exception_fp_ieee_overflow 0
		.amdhsa_exception_fp_ieee_underflow 0
		.amdhsa_exception_fp_ieee_inexact 0
		.amdhsa_exception_int_div_zero 0
	.end_amdhsa_kernel
	.text
.Lfunc_end0:
	.size	fft_rtc_fwd_len1445_factors_17_5_17_wgs_85_tpt_85_halfLds_dp_op_CI_CI_sbrr_dirReg, .Lfunc_end0-fft_rtc_fwd_len1445_factors_17_5_17_wgs_85_tpt_85_halfLds_dp_op_CI_CI_sbrr_dirReg
                                        ; -- End function
	.section	.AMDGPU.csdata,"",@progbits
; Kernel info:
; codeLenInByte = 20308
; NumSgprs: 62
; NumVgprs: 255
; ScratchSize: 0
; MemoryBound: 1
; FloatMode: 240
; IeeeMode: 1
; LDSByteSize: 0 bytes/workgroup (compile time only)
; SGPRBlocks: 7
; VGPRBlocks: 31
; NumSGPRsForWavesPerEU: 62
; NumVGPRsForWavesPerEU: 255
; Occupancy: 4
; WaveLimiterHint : 1
; COMPUTE_PGM_RSRC2:SCRATCH_EN: 0
; COMPUTE_PGM_RSRC2:USER_SGPR: 6
; COMPUTE_PGM_RSRC2:TRAP_HANDLER: 0
; COMPUTE_PGM_RSRC2:TGID_X_EN: 1
; COMPUTE_PGM_RSRC2:TGID_Y_EN: 0
; COMPUTE_PGM_RSRC2:TGID_Z_EN: 0
; COMPUTE_PGM_RSRC2:TIDIG_COMP_CNT: 0
	.text
	.p2alignl 6, 3214868480
	.fill 48, 4, 3214868480
	.type	__hip_cuid_95bbfab73bb899f2,@object ; @__hip_cuid_95bbfab73bb899f2
	.section	.bss,"aw",@nobits
	.globl	__hip_cuid_95bbfab73bb899f2
__hip_cuid_95bbfab73bb899f2:
	.byte	0                               ; 0x0
	.size	__hip_cuid_95bbfab73bb899f2, 1

	.ident	"AMD clang version 19.0.0git (https://github.com/RadeonOpenCompute/llvm-project roc-6.4.0 25133 c7fe45cf4b819c5991fe208aaa96edf142730f1d)"
	.section	".note.GNU-stack","",@progbits
	.addrsig
	.addrsig_sym __hip_cuid_95bbfab73bb899f2
	.amdgpu_metadata
---
amdhsa.kernels:
  - .args:
      - .actual_access:  read_only
        .address_space:  global
        .offset:         0
        .size:           8
        .value_kind:     global_buffer
      - .offset:         8
        .size:           8
        .value_kind:     by_value
      - .actual_access:  read_only
        .address_space:  global
        .offset:         16
        .size:           8
        .value_kind:     global_buffer
      - .actual_access:  read_only
        .address_space:  global
        .offset:         24
        .size:           8
        .value_kind:     global_buffer
      - .actual_access:  read_only
        .address_space:  global
        .offset:         32
        .size:           8
        .value_kind:     global_buffer
      - .offset:         40
        .size:           8
        .value_kind:     by_value
      - .actual_access:  read_only
        .address_space:  global
        .offset:         48
        .size:           8
        .value_kind:     global_buffer
      - .actual_access:  read_only
        .address_space:  global
        .offset:         56
        .size:           8
        .value_kind:     global_buffer
      - .offset:         64
        .size:           4
        .value_kind:     by_value
      - .actual_access:  read_only
        .address_space:  global
        .offset:         72
        .size:           8
        .value_kind:     global_buffer
      - .actual_access:  read_only
        .address_space:  global
        .offset:         80
        .size:           8
        .value_kind:     global_buffer
      - .actual_access:  read_only
        .address_space:  global
        .offset:         88
        .size:           8
        .value_kind:     global_buffer
      - .actual_access:  write_only
        .address_space:  global
        .offset:         96
        .size:           8
        .value_kind:     global_buffer
    .group_segment_fixed_size: 0
    .kernarg_segment_align: 8
    .kernarg_segment_size: 104
    .language:       OpenCL C
    .language_version:
      - 2
      - 0
    .max_flat_workgroup_size: 85
    .name:           fft_rtc_fwd_len1445_factors_17_5_17_wgs_85_tpt_85_halfLds_dp_op_CI_CI_sbrr_dirReg
    .private_segment_fixed_size: 0
    .sgpr_count:     62
    .sgpr_spill_count: 0
    .symbol:         fft_rtc_fwd_len1445_factors_17_5_17_wgs_85_tpt_85_halfLds_dp_op_CI_CI_sbrr_dirReg.kd
    .uniform_work_group_size: 1
    .uses_dynamic_stack: false
    .vgpr_count:     255
    .vgpr_spill_count: 0
    .wavefront_size: 32
    .workgroup_processor_mode: 1
amdhsa.target:   amdgcn-amd-amdhsa--gfx1030
amdhsa.version:
  - 1
  - 2
...

	.end_amdgpu_metadata
